;; amdgpu-corpus repo=ROCm/rocFFT kind=compiled arch=gfx1100 opt=O3
	.text
	.amdgcn_target "amdgcn-amd-amdhsa--gfx1100"
	.amdhsa_code_object_version 6
	.protected	fft_rtc_back_len208_factors_13_16_wgs_144_tpt_16_dp_ip_CI_sbcc_twdbase5_3step_dirReg_intrinsicReadWrite ; -- Begin function fft_rtc_back_len208_factors_13_16_wgs_144_tpt_16_dp_ip_CI_sbcc_twdbase5_3step_dirReg_intrinsicReadWrite
	.globl	fft_rtc_back_len208_factors_13_16_wgs_144_tpt_16_dp_ip_CI_sbcc_twdbase5_3step_dirReg_intrinsicReadWrite
	.p2align	8
	.type	fft_rtc_back_len208_factors_13_16_wgs_144_tpt_16_dp_ip_CI_sbcc_twdbase5_3step_dirReg_intrinsicReadWrite,@function
fft_rtc_back_len208_factors_13_16_wgs_144_tpt_16_dp_ip_CI_sbcc_twdbase5_3step_dirReg_intrinsicReadWrite: ; @fft_rtc_back_len208_factors_13_16_wgs_144_tpt_16_dp_ip_CI_sbcc_twdbase5_3step_dirReg_intrinsicReadWrite
; %bb.0:
	s_load_b256 s[4:11], s[0:1], 0x8
	s_mov_b32 s18, s15
	s_mov_b32 s2, exec_lo
	v_cmpx_gt_u32_e32 0x60, v0
	s_cbranch_execz .LBB0_2
; %bb.1:
	v_lshlrev_b32_e32 v5, 4, v0
	s_waitcnt lgkmcnt(0)
	global_load_b128 v[1:4], v5, s[4:5]
	v_add3_u32 v5, 0, v5, 0x7500
	s_waitcnt vmcnt(0)
	ds_store_2addr_b64 v5, v[1:2], v[3:4] offset1:1
.LBB0_2:
	s_or_b32 exec_lo, exec_lo, s2
	s_waitcnt lgkmcnt(0)
	s_load_b64 s[16:17], s[8:9], 0x8
	s_mov_b64 s[22:23], 0
	s_waitcnt lgkmcnt(0)
	s_add_u32 s2, s16, -1
	s_addc_u32 s3, s17, -1
	s_add_u32 s4, 0, 0x71c4fc00
	s_addc_u32 s5, 0, 0x7c
	s_mul_hi_u32 s13, s4, -9
	s_add_i32 s5, s5, 0x1c71c6a0
	s_sub_i32 s13, s13, s4
	s_mul_i32 s15, s5, -9
	s_mul_i32 s12, s4, -9
	s_add_i32 s13, s13, s15
	s_mul_hi_u32 s14, s4, s12
	s_mul_i32 s20, s4, s13
	s_mul_hi_u32 s15, s4, s13
	s_mul_hi_u32 s19, s5, s12
	s_mul_i32 s12, s5, s12
	s_add_u32 s14, s14, s20
	s_addc_u32 s15, 0, s15
	s_mul_hi_u32 s21, s5, s13
	s_add_u32 s12, s14, s12
	s_mul_i32 s13, s5, s13
	s_addc_u32 s12, s15, s19
	s_addc_u32 s14, s21, 0
	s_add_u32 s12, s12, s13
	s_delay_alu instid0(SALU_CYCLE_1) | instskip(SKIP_3) | instid1(VALU_DEP_1)
	v_add_co_u32 v1, s4, s4, s12
	s_addc_u32 s12, 0, s14
	s_cmp_lg_u32 s4, 0
	s_addc_u32 s4, s5, s12
	v_readfirstlane_b32 s5, v1
	s_mul_i32 s13, s2, s4
	s_mul_hi_u32 s12, s2, s4
	s_mul_hi_u32 s14, s3, s4
	s_mul_i32 s4, s3, s4
	s_mul_hi_u32 s15, s2, s5
	s_mul_hi_u32 s19, s3, s5
	s_mul_i32 s5, s3, s5
	s_add_u32 s13, s15, s13
	s_addc_u32 s12, 0, s12
	s_add_u32 s5, s13, s5
	s_addc_u32 s5, s12, s19
	s_addc_u32 s12, s14, 0
	s_add_u32 s4, s5, s4
	s_addc_u32 s5, 0, s12
	s_mul_i32 s13, s4, 9
	s_add_u32 s12, s4, 1
	v_sub_co_u32 v1, s2, s2, s13
	s_mul_hi_u32 s13, s4, 9
	s_addc_u32 s14, s5, 0
	s_mul_i32 s15, s5, 9
	s_delay_alu instid0(VALU_DEP_1)
	v_sub_co_u32 v2, s19, v1, 9
	s_add_u32 s20, s4, 2
	s_addc_u32 s21, s5, 0
	s_add_i32 s13, s13, s15
	s_cmp_lg_u32 s2, 0
	v_readfirstlane_b32 s2, v2
	s_subb_u32 s3, s3, s13
	s_cmp_lg_u32 s19, 0
	s_mov_b32 s19, 0
	s_subb_u32 s13, s3, 0
	s_cmp_gt_u32 s2, 8
	s_cselect_b32 s2, -1, 0
	s_cmp_eq_u32 s13, 0
	v_readfirstlane_b32 s13, v1
	s_cselect_b32 s2, s2, -1
	s_delay_alu instid0(SALU_CYCLE_1)
	s_cmp_lg_u32 s2, 0
	s_cselect_b32 s2, s20, s12
	s_cselect_b32 s12, s21, s14
	s_cmp_gt_u32 s13, 8
	s_cselect_b32 s13, -1, 0
	s_cmp_eq_u32 s3, 0
	s_cselect_b32 s3, s13, -1
	s_delay_alu instid0(SALU_CYCLE_1) | instskip(SKIP_4) | instid1(SALU_CYCLE_1)
	s_cmp_lg_u32 s3, 0
	s_cselect_b32 s2, s2, s4
	s_cselect_b32 s3, s12, s5
	s_add_u32 s20, s2, 1
	s_addc_u32 s21, s3, 0
	v_cmp_lt_u64_e64 s2, s[18:19], s[20:21]
	s_delay_alu instid0(VALU_DEP_1)
	s_and_b32 vcc_lo, exec_lo, s2
	s_cbranch_vccnz .LBB0_4
; %bb.3:
	v_cvt_f32_u32_e32 v1, s20
	s_sub_i32 s3, 0, s20
	s_mov_b32 s23, s19
	s_delay_alu instid0(VALU_DEP_1) | instskip(SKIP_2) | instid1(VALU_DEP_1)
	v_rcp_iflag_f32_e32 v1, v1
	s_waitcnt_depctr 0xfff
	v_mul_f32_e32 v1, 0x4f7ffffe, v1
	v_cvt_u32_f32_e32 v1, v1
	s_delay_alu instid0(VALU_DEP_1) | instskip(NEXT) | instid1(VALU_DEP_1)
	v_readfirstlane_b32 s2, v1
	s_mul_i32 s3, s3, s2
	s_delay_alu instid0(SALU_CYCLE_1) | instskip(NEXT) | instid1(SALU_CYCLE_1)
	s_mul_hi_u32 s3, s2, s3
	s_add_i32 s2, s2, s3
	s_delay_alu instid0(SALU_CYCLE_1) | instskip(NEXT) | instid1(SALU_CYCLE_1)
	s_mul_hi_u32 s2, s18, s2
	s_mul_i32 s3, s2, s20
	s_add_i32 s4, s2, 1
	s_sub_i32 s3, s18, s3
	s_delay_alu instid0(SALU_CYCLE_1)
	s_sub_i32 s5, s3, s20
	s_cmp_ge_u32 s3, s20
	s_cselect_b32 s2, s4, s2
	s_cselect_b32 s3, s5, s3
	s_add_i32 s4, s2, 1
	s_cmp_ge_u32 s3, s20
	s_cselect_b32 s22, s4, s2
.LBB0_4:
	s_load_b128 s[12:15], s[10:11], 0x0
	s_clause 0x1
	s_load_b64 s[2:3], s[0:1], 0x58
	s_load_b64 s[4:5], s[0:1], 0x0
	s_mul_i32 s0, s22, s21
	s_mul_hi_u32 s1, s22, s20
	s_waitcnt lgkmcnt(0)
	s_mul_i32 s13, s22, s20
	s_add_i32 s1, s1, s0
	s_sub_u32 s34, s18, s13
	s_subb_u32 s0, 0, s1
	v_cmp_lt_u64_e64 s24, s[6:7], 3
	s_mul_hi_u32 s33, s34, 9
	s_mul_i32 s0, s0, 9
	s_mul_i32 s34, s34, 9
	s_add_i32 s33, s33, s0
	s_delay_alu instid0(VALU_DEP_1)
	s_and_b32 vcc_lo, exec_lo, s24
	s_mul_i32 s0, s14, s33
	s_mul_hi_u32 s1, s14, s34
	s_mul_i32 s24, s15, s34
	s_add_i32 s0, s1, s0
	s_mul_i32 s13, s14, s34
	s_add_i32 s35, s0, s24
	s_cbranch_vccnz .LBB0_14
; %bb.5:
	s_add_u32 s0, s10, 16
	s_addc_u32 s1, s11, 0
	s_add_u32 s8, s8, 16
	s_addc_u32 s9, s9, 0
	s_mov_b64 s[24:25], 2
	s_mov_b32 s26, 0
.LBB0_6:                                ; =>This Inner Loop Header: Depth=1
	s_load_b64 s[28:29], s[8:9], 0x0
	s_waitcnt lgkmcnt(0)
	s_or_b64 s[30:31], s[22:23], s[28:29]
	s_delay_alu instid0(SALU_CYCLE_1) | instskip(NEXT) | instid1(SALU_CYCLE_1)
	s_mov_b32 s27, s31
                                        ; implicit-def: $sgpr30_sgpr31
	s_cmp_lg_u64 s[26:27], 0
	s_mov_b32 s27, -1
	s_cbranch_scc0 .LBB0_8
; %bb.7:                                ;   in Loop: Header=BB0_6 Depth=1
	v_cvt_f32_u32_e32 v1, s28
	v_cvt_f32_u32_e32 v2, s29
	s_sub_u32 s31, 0, s28
	s_subb_u32 s36, 0, s29
	s_delay_alu instid0(VALU_DEP_1) | instskip(NEXT) | instid1(VALU_DEP_1)
	v_fmac_f32_e32 v1, 0x4f800000, v2
	v_rcp_f32_e32 v1, v1
	s_waitcnt_depctr 0xfff
	v_mul_f32_e32 v1, 0x5f7ffffc, v1
	s_delay_alu instid0(VALU_DEP_1) | instskip(NEXT) | instid1(VALU_DEP_1)
	v_mul_f32_e32 v2, 0x2f800000, v1
	v_trunc_f32_e32 v2, v2
	s_delay_alu instid0(VALU_DEP_1) | instskip(SKIP_1) | instid1(VALU_DEP_2)
	v_fmac_f32_e32 v1, 0xcf800000, v2
	v_cvt_u32_f32_e32 v2, v2
	v_cvt_u32_f32_e32 v1, v1
	s_delay_alu instid0(VALU_DEP_2) | instskip(NEXT) | instid1(VALU_DEP_2)
	v_readfirstlane_b32 s27, v2
	v_readfirstlane_b32 s30, v1
	s_delay_alu instid0(VALU_DEP_2) | instskip(NEXT) | instid1(VALU_DEP_1)
	s_mul_i32 s37, s31, s27
	s_mul_hi_u32 s39, s31, s30
	s_mul_i32 s38, s36, s30
	s_add_i32 s37, s39, s37
	s_mul_i32 s40, s31, s30
	s_add_i32 s37, s37, s38
	s_mul_hi_u32 s39, s30, s40
	s_mul_hi_u32 s41, s27, s40
	s_mul_i32 s38, s27, s40
	s_mul_hi_u32 s40, s30, s37
	s_mul_i32 s30, s30, s37
	s_mul_hi_u32 s42, s27, s37
	s_add_u32 s30, s39, s30
	s_addc_u32 s39, 0, s40
	s_add_u32 s30, s30, s38
	s_mul_i32 s37, s27, s37
	s_addc_u32 s30, s39, s41
	s_addc_u32 s38, s42, 0
	s_add_u32 s30, s30, s37
	s_addc_u32 s37, 0, s38
	v_add_co_u32 v1, s30, v1, s30
	s_delay_alu instid0(VALU_DEP_1) | instskip(SKIP_1) | instid1(VALU_DEP_1)
	s_cmp_lg_u32 s30, 0
	s_addc_u32 s27, s27, s37
	v_readfirstlane_b32 s30, v1
	s_mul_i32 s37, s31, s27
	s_delay_alu instid0(VALU_DEP_1)
	s_mul_hi_u32 s38, s31, s30
	s_mul_i32 s36, s36, s30
	s_add_i32 s37, s38, s37
	s_mul_i32 s31, s31, s30
	s_add_i32 s37, s37, s36
	s_mul_hi_u32 s38, s27, s31
	s_mul_i32 s39, s27, s31
	s_mul_hi_u32 s31, s30, s31
	s_mul_hi_u32 s40, s30, s37
	s_mul_i32 s30, s30, s37
	s_mul_hi_u32 s36, s27, s37
	s_add_u32 s30, s31, s30
	s_addc_u32 s31, 0, s40
	s_add_u32 s30, s30, s39
	s_mul_i32 s37, s27, s37
	s_addc_u32 s30, s31, s38
	s_addc_u32 s31, s36, 0
	s_add_u32 s30, s30, s37
	s_addc_u32 s31, 0, s31
	v_add_co_u32 v1, s30, v1, s30
	s_delay_alu instid0(VALU_DEP_1) | instskip(SKIP_1) | instid1(VALU_DEP_1)
	s_cmp_lg_u32 s30, 0
	s_addc_u32 s27, s27, s31
	v_readfirstlane_b32 s30, v1
	s_mul_i32 s36, s22, s27
	s_mul_hi_u32 s31, s22, s27
	s_mul_hi_u32 s37, s23, s27
	s_mul_i32 s27, s23, s27
	s_mul_hi_u32 s38, s22, s30
	s_mul_hi_u32 s39, s23, s30
	s_mul_i32 s30, s23, s30
	s_add_u32 s36, s38, s36
	s_addc_u32 s31, 0, s31
	s_add_u32 s30, s36, s30
	s_addc_u32 s30, s31, s39
	s_addc_u32 s31, s37, 0
	s_add_u32 s30, s30, s27
	s_addc_u32 s31, 0, s31
	s_mul_hi_u32 s27, s28, s30
	s_mul_i32 s37, s28, s31
	s_mul_i32 s38, s28, s30
	s_add_i32 s27, s27, s37
	v_sub_co_u32 v1, s37, s22, s38
	s_mul_i32 s36, s29, s30
	s_delay_alu instid0(SALU_CYCLE_1) | instskip(NEXT) | instid1(VALU_DEP_1)
	s_add_i32 s27, s27, s36
	v_sub_co_u32 v2, s38, v1, s28
	s_sub_i32 s36, s23, s27
	s_cmp_lg_u32 s37, 0
	s_subb_u32 s36, s36, s29
	s_cmp_lg_u32 s38, 0
	v_readfirstlane_b32 s38, v2
	s_subb_u32 s36, s36, 0
	s_delay_alu instid0(SALU_CYCLE_1) | instskip(SKIP_1) | instid1(VALU_DEP_1)
	s_cmp_ge_u32 s36, s29
	s_cselect_b32 s39, -1, 0
	s_cmp_ge_u32 s38, s28
	s_cselect_b32 s38, -1, 0
	s_cmp_eq_u32 s36, s29
	s_cselect_b32 s36, s38, s39
	s_add_u32 s38, s30, 1
	s_addc_u32 s39, s31, 0
	s_add_u32 s40, s30, 2
	s_addc_u32 s41, s31, 0
	s_cmp_lg_u32 s36, 0
	s_cselect_b32 s36, s40, s38
	s_cselect_b32 s38, s41, s39
	s_cmp_lg_u32 s37, 0
	v_readfirstlane_b32 s37, v1
	s_subb_u32 s27, s23, s27
	s_delay_alu instid0(SALU_CYCLE_1) | instskip(SKIP_1) | instid1(VALU_DEP_1)
	s_cmp_ge_u32 s27, s29
	s_cselect_b32 s39, -1, 0
	s_cmp_ge_u32 s37, s28
	s_cselect_b32 s37, -1, 0
	s_cmp_eq_u32 s27, s29
	s_cselect_b32 s27, s37, s39
	s_delay_alu instid0(SALU_CYCLE_1)
	s_cmp_lg_u32 s27, 0
	s_mov_b32 s27, 0
	s_cselect_b32 s31, s38, s31
	s_cselect_b32 s30, s36, s30
.LBB0_8:                                ;   in Loop: Header=BB0_6 Depth=1
	s_and_not1_b32 vcc_lo, exec_lo, s27
	s_cbranch_vccnz .LBB0_10
; %bb.9:                                ;   in Loop: Header=BB0_6 Depth=1
	v_cvt_f32_u32_e32 v1, s28
	s_sub_i32 s30, 0, s28
	s_waitcnt_depctr 0xfff
	v_rcp_iflag_f32_e32 v1, v1
	s_waitcnt_depctr 0xfff
	v_mul_f32_e32 v1, 0x4f7ffffe, v1
	s_delay_alu instid0(VALU_DEP_1) | instskip(NEXT) | instid1(VALU_DEP_1)
	v_cvt_u32_f32_e32 v1, v1
	v_readfirstlane_b32 s27, v1
	s_delay_alu instid0(VALU_DEP_1) | instskip(NEXT) | instid1(SALU_CYCLE_1)
	s_mul_i32 s30, s30, s27
	s_mul_hi_u32 s30, s27, s30
	s_delay_alu instid0(SALU_CYCLE_1) | instskip(NEXT) | instid1(SALU_CYCLE_1)
	s_add_i32 s27, s27, s30
	s_mul_hi_u32 s27, s22, s27
	s_delay_alu instid0(SALU_CYCLE_1) | instskip(SKIP_2) | instid1(SALU_CYCLE_1)
	s_mul_i32 s30, s27, s28
	s_add_i32 s31, s27, 1
	s_sub_i32 s30, s22, s30
	s_sub_i32 s36, s30, s28
	s_cmp_ge_u32 s30, s28
	s_cselect_b32 s27, s31, s27
	s_cselect_b32 s30, s36, s30
	s_add_i32 s31, s27, 1
	s_cmp_ge_u32 s30, s28
	s_cselect_b32 s30, s31, s27
	s_mov_b32 s31, s26
.LBB0_10:                               ;   in Loop: Header=BB0_6 Depth=1
	s_load_b64 s[36:37], s[0:1], 0x0
	s_mul_i32 s21, s28, s21
	s_mul_hi_u32 s27, s28, s20
	s_mul_i32 s38, s29, s20
	s_mul_i32 s29, s30, s29
	s_mul_hi_u32 s39, s30, s28
	s_mul_i32 s40, s31, s28
	s_add_i32 s21, s27, s21
	s_add_i32 s27, s39, s29
	s_mul_i32 s41, s30, s28
	s_add_i32 s21, s21, s38
	s_add_i32 s27, s27, s40
	s_sub_u32 s22, s22, s41
	s_subb_u32 s23, s23, s27
	s_mul_i32 s20, s28, s20
	s_waitcnt lgkmcnt(0)
	s_mul_i32 s23, s36, s23
	s_mul_hi_u32 s27, s36, s22
	s_delay_alu instid0(SALU_CYCLE_1)
	s_add_i32 s23, s27, s23
	s_mul_i32 s27, s37, s22
	s_mul_i32 s22, s36, s22
	s_add_i32 s23, s23, s27
	s_add_u32 s13, s22, s13
	s_addc_u32 s35, s23, s35
	s_add_u32 s24, s24, 1
	s_addc_u32 s25, s25, 0
	s_add_u32 s0, s0, 8
	v_cmp_ge_u64_e64 s22, s[24:25], s[6:7]
	s_addc_u32 s1, s1, 0
	s_add_u32 s8, s8, 8
	s_addc_u32 s9, s9, 0
	s_delay_alu instid0(VALU_DEP_1)
	s_and_b32 vcc_lo, exec_lo, s22
	s_cbranch_vccnz .LBB0_12
; %bb.11:                               ;   in Loop: Header=BB0_6 Depth=1
	s_mov_b64 s[22:23], s[30:31]
	s_branch .LBB0_6
.LBB0_12:
	v_cmp_lt_u64_e64 s0, s[18:19], s[20:21]
	s_mov_b64 s[22:23], 0
	s_delay_alu instid0(VALU_DEP_1)
	s_and_b32 vcc_lo, exec_lo, s0
	s_cbranch_vccnz .LBB0_14
; %bb.13:
	v_cvt_f32_u32_e32 v1, s20
	s_sub_i32 s1, 0, s20
	s_delay_alu instid0(VALU_DEP_1) | instskip(SKIP_2) | instid1(VALU_DEP_1)
	v_rcp_iflag_f32_e32 v1, v1
	s_waitcnt_depctr 0xfff
	v_mul_f32_e32 v1, 0x4f7ffffe, v1
	v_cvt_u32_f32_e32 v1, v1
	s_delay_alu instid0(VALU_DEP_1) | instskip(NEXT) | instid1(VALU_DEP_1)
	v_readfirstlane_b32 s0, v1
	s_mul_i32 s1, s1, s0
	s_delay_alu instid0(SALU_CYCLE_1) | instskip(NEXT) | instid1(SALU_CYCLE_1)
	s_mul_hi_u32 s1, s0, s1
	s_add_i32 s0, s0, s1
	s_delay_alu instid0(SALU_CYCLE_1) | instskip(NEXT) | instid1(SALU_CYCLE_1)
	s_mul_hi_u32 s0, s18, s0
	s_mul_i32 s1, s0, s20
	s_add_i32 s8, s0, 1
	s_sub_i32 s1, s18, s1
	s_delay_alu instid0(SALU_CYCLE_1)
	s_sub_i32 s9, s1, s20
	s_cmp_ge_u32 s1, s20
	s_cselect_b32 s0, s8, s0
	s_cselect_b32 s1, s9, s1
	s_add_i32 s8, s0, 1
	s_cmp_ge_u32 s1, s20
	s_cselect_b32 s22, s8, s0
.LBB0_14:
	s_lshl_b64 s[0:1], s[6:7], 3
	v_mul_hi_u32 v89, 0x1c71c71d, v0
	s_add_u32 s0, s10, s0
	s_addc_u32 s1, s11, s1
	v_mov_b32_e32 v53, 0
	s_load_b64 s[0:1], s[0:1], 0x0
	v_dual_mov_b32 v54, 0 :: v_dual_mov_b32 v5, 0
	s_delay_alu instid0(VALU_DEP_3) | instskip(NEXT) | instid1(VALU_DEP_1)
	v_mul_u32_u24_e32 v1, 9, v89
	v_sub_nc_u32_e32 v90, v0, v1
	s_delay_alu instid0(VALU_DEP_1) | instskip(SKIP_2) | instid1(VALU_DEP_1)
	v_mad_u64_u32 v[127:128], null, s14, v90, 0
	s_waitcnt lgkmcnt(0)
	v_add_co_u32 v125, s1, s34, v90
	v_add_co_ci_u32_e64 v126, null, s33, 0, s1
	s_mul_i32 s0, s0, s22
	s_delay_alu instid0(VALU_DEP_3)
	v_mov_b32_e32 v1, v128
	s_add_u32 s13, s0, s13
	s_add_u32 s0, s34, 9
	s_addc_u32 s1, s33, 0
	v_cmp_gt_u64_e32 vcc_lo, s[16:17], v[125:126]
	v_cmp_le_u64_e64 s33, s[0:1], s[16:17]
	v_mad_u64_u32 v[2:3], null, s15, v90, v[1:2]
	v_mov_b32_e32 v3, v53
	v_dual_mov_b32 v1, v53 :: v_dual_mov_b32 v2, v54
	v_mov_b32_e32 v4, v54
	s_or_b32 s1, s33, vcc_lo
	s_delay_alu instid0(SALU_CYCLE_1)
	s_and_saveexec_b32 s6, s1
	s_cbranch_execz .LBB0_16
; %bb.15:
	v_mul_lo_u32 v1, s12, v89
	s_delay_alu instid0(VALU_DEP_1) | instskip(NEXT) | instid1(VALU_DEP_1)
	v_add3_u32 v4, s13, v127, v1
	v_lshlrev_b64 v[1:2], 4, v[4:5]
	s_delay_alu instid0(VALU_DEP_1) | instskip(NEXT) | instid1(VALU_DEP_1)
	v_add_co_u32 v1, s0, s2, v1
	v_add_co_ci_u32_e64 v2, s0, s3, v2, s0
	global_load_b128 v[1:4], v[1:2], off
.LBB0_16:
	s_or_b32 exec_lo, exec_lo, s6
	v_dual_mov_b32 v51, v53 :: v_dual_mov_b32 v52, v54
	s_and_saveexec_b32 s6, s1
	s_cbranch_execz .LBB0_18
; %bb.17:
	v_dual_mov_b32 v6, 0 :: v_dual_add_nc_u32 v5, 16, v89
	s_delay_alu instid0(VALU_DEP_1) | instskip(NEXT) | instid1(VALU_DEP_1)
	v_mul_lo_u32 v5, s12, v5
	v_add3_u32 v5, s13, v127, v5
	s_delay_alu instid0(VALU_DEP_1) | instskip(NEXT) | instid1(VALU_DEP_1)
	v_lshlrev_b64 v[5:6], 4, v[5:6]
	v_add_co_u32 v5, s0, s2, v5
	s_delay_alu instid0(VALU_DEP_1)
	v_add_co_ci_u32_e64 v6, s0, s3, v6, s0
	global_load_b128 v[51:54], v[5:6], off
.LBB0_18:
	s_or_b32 exec_lo, exec_lo, s6
	v_mov_b32_e32 v41, 0
	v_mov_b32_e32 v42, 0
	s_delay_alu instid0(VALU_DEP_1)
	v_dual_mov_b32 v50, v42 :: v_dual_mov_b32 v49, v41
	v_dual_mov_b32 v48, v42 :: v_dual_mov_b32 v47, v41
	s_and_saveexec_b32 s6, s1
	s_cbranch_execz .LBB0_20
; %bb.19:
	v_or_b32_e32 v5, 32, v89
	v_mov_b32_e32 v6, 0
	s_delay_alu instid0(VALU_DEP_2) | instskip(NEXT) | instid1(VALU_DEP_1)
	v_mul_lo_u32 v5, s12, v5
	v_add3_u32 v5, s13, v127, v5
	s_delay_alu instid0(VALU_DEP_1) | instskip(NEXT) | instid1(VALU_DEP_1)
	v_lshlrev_b64 v[5:6], 4, v[5:6]
	v_add_co_u32 v5, s0, s2, v5
	s_delay_alu instid0(VALU_DEP_1)
	v_add_co_ci_u32_e64 v6, s0, s3, v6, s0
	global_load_b128 v[47:50], v[5:6], off
.LBB0_20:
	s_or_b32 exec_lo, exec_lo, s6
	v_dual_mov_b32 v39, v41 :: v_dual_mov_b32 v40, v42
	s_and_saveexec_b32 s6, s1
	s_cbranch_execz .LBB0_22
; %bb.21:
	v_dual_mov_b32 v6, 0 :: v_dual_add_nc_u32 v5, 48, v89
	s_delay_alu instid0(VALU_DEP_1) | instskip(NEXT) | instid1(VALU_DEP_1)
	v_mul_lo_u32 v5, s12, v5
	v_add3_u32 v5, s13, v127, v5
	s_delay_alu instid0(VALU_DEP_1) | instskip(NEXT) | instid1(VALU_DEP_1)
	v_lshlrev_b64 v[5:6], 4, v[5:6]
	v_add_co_u32 v5, s0, s2, v5
	s_delay_alu instid0(VALU_DEP_1)
	v_add_co_ci_u32_e64 v6, s0, s3, v6, s0
	global_load_b128 v[39:42], v[5:6], off
.LBB0_22:
	s_or_b32 exec_lo, exec_lo, s6
	v_mov_b32_e32 v23, 0
	v_mov_b32_e32 v24, 0
	s_delay_alu instid0(VALU_DEP_1)
	v_dual_mov_b32 v46, v24 :: v_dual_mov_b32 v45, v23
	v_dual_mov_b32 v44, v24 :: v_dual_mov_b32 v43, v23
	s_and_saveexec_b32 s6, s1
	s_cbranch_execz .LBB0_24
; %bb.23:
	v_or_b32_e32 v5, 64, v89
	v_mov_b32_e32 v6, 0
	s_delay_alu instid0(VALU_DEP_2) | instskip(NEXT) | instid1(VALU_DEP_1)
	v_mul_lo_u32 v5, s12, v5
	v_add3_u32 v5, s13, v127, v5
	s_delay_alu instid0(VALU_DEP_1) | instskip(NEXT) | instid1(VALU_DEP_1)
	v_lshlrev_b64 v[5:6], 4, v[5:6]
	v_add_co_u32 v5, s0, s2, v5
	s_delay_alu instid0(VALU_DEP_1)
	v_add_co_ci_u32_e64 v6, s0, s3, v6, s0
	global_load_b128 v[43:46], v[5:6], off
.LBB0_24:
	;; [unrolled: 37-line block ×5, first 2 shown]
	s_or_b32 exec_lo, exec_lo, s6
	v_dual_mov_b32 v5, v7 :: v_dual_mov_b32 v6, v8
	s_and_saveexec_b32 s6, s1
	s_cbranch_execz .LBB0_38
; %bb.37:
	v_dual_mov_b32 v6, 0 :: v_dual_add_nc_u32 v5, 0xb0, v89
	s_delay_alu instid0(VALU_DEP_1) | instskip(NEXT) | instid1(VALU_DEP_1)
	v_mul_lo_u32 v5, s12, v5
	v_add3_u32 v5, s13, v127, v5
	s_delay_alu instid0(VALU_DEP_1) | instskip(NEXT) | instid1(VALU_DEP_1)
	v_lshlrev_b64 v[5:6], 4, v[5:6]
	v_add_co_u32 v5, s0, s2, v5
	s_delay_alu instid0(VALU_DEP_1)
	v_add_co_ci_u32_e64 v6, s0, s3, v6, s0
	global_load_b128 v[5:8], v[5:6], off
.LBB0_38:
	s_or_b32 exec_lo, exec_lo, s6
	v_mov_b32_e32 v37, 0
	v_mov_b32_e32 v38, 0
	s_delay_alu instid0(VALU_DEP_1)
	v_dual_mov_b32 v35, v37 :: v_dual_mov_b32 v36, v38
	s_and_saveexec_b32 s6, s1
	s_cbranch_execz .LBB0_40
; %bb.39:
	v_or_b32_e32 v33, 0xc0, v89
	v_mov_b32_e32 v34, 0
	s_delay_alu instid0(VALU_DEP_2) | instskip(NEXT) | instid1(VALU_DEP_1)
	v_mul_lo_u32 v33, s12, v33
	v_add3_u32 v33, s13, v127, v33
	s_delay_alu instid0(VALU_DEP_1) | instskip(NEXT) | instid1(VALU_DEP_1)
	v_lshlrev_b64 v[33:34], 4, v[33:34]
	v_add_co_u32 v33, s0, s2, v33
	s_delay_alu instid0(VALU_DEP_1)
	v_add_co_ci_u32_e64 v34, s0, s3, v34, s0
	global_load_b128 v[35:38], v[33:34], off
.LBB0_40:
	s_or_b32 exec_lo, exec_lo, s6
	s_waitcnt vmcnt(0)
	v_add_f64 v[33:34], v[1:2], v[51:52]
	v_add_f64 v[55:56], v[3:4], v[53:54]
	v_add_f64 v[61:62], v[53:54], -v[37:38]
	v_add_f64 v[59:60], v[51:52], -v[35:36]
	;; [unrolled: 1-line block ×4, first 2 shown]
	v_add_f64 v[65:66], v[41:42], v[11:12]
	v_add_f64 v[77:78], v[45:46], v[15:16]
	v_add_f64 v[87:88], v[45:46], -v[15:16]
	s_mov_b32 s24, 0x42a4c3d2
	s_mov_b32 s28, 0x66966769
	;; [unrolled: 1-line block ×12, first 2 shown]
	v_add_f64 v[71:72], v[49:50], -v[7:8]
	v_add_f64 v[83:84], v[39:40], -v[9:10]
	v_add_f64 v[67:68], v[39:40], v[9:10]
	v_add_f64 v[81:82], v[43:44], v[13:14]
	v_add_f64 v[79:80], v[43:44], -v[13:14]
	v_add_f64 v[63:64], v[31:32], -v[19:20]
	s_mov_b32 s0, 0xe00740e9
	s_mov_b32 s6, 0x1ea71119
	;; [unrolled: 1-line block ×11, first 2 shown]
	v_add_f64 v[33:34], v[33:34], v[47:48]
	v_add_f64 v[55:56], v[55:56], v[49:50]
	v_mul_f64 v[91:92], v[61:62], s[28:29]
	v_mul_f64 v[93:94], v[61:62], s[20:21]
	;; [unrolled: 1-line block ×9, first 2 shown]
	s_mov_b32 s17, 0xbfef11f4
	s_mov_b32 s35, 0x3fe5384d
	;; [unrolled: 1-line block ×11, first 2 shown]
	v_mul_f64 v[107:108], v[71:72], s[20:21]
	v_mul_f64 v[109:110], v[69:70], s[20:21]
	;; [unrolled: 1-line block ×16, first 2 shown]
	v_add_f64 v[33:34], v[33:34], v[39:40]
	v_add_f64 v[57:58], v[55:56], v[41:42]
	;; [unrolled: 1-line block ×6, first 2 shown]
	v_add_f64 v[47:48], v[23:24], -v[27:28]
	v_add_f64 v[39:40], v[31:32], v[19:20]
	v_mul_f64 v[142:143], v[85:86], s[26:27]
	v_mul_f64 v[144:145], v[83:84], s[28:29]
	;; [unrolled: 1-line block ×11, first 2 shown]
	v_fma_f64 v[180:181], v[65:66], s[16:17], -v[113:114]
	v_fma_f64 v[113:114], v[65:66], s[16:17], v[113:114]
	v_fma_f64 v[186:187], v[67:68], s[10:11], v[119:120]
	v_fma_f64 v[188:189], v[65:66], s[10:11], -v[121:122]
	v_fma_f64 v[119:120], v[67:68], s[10:11], -v[119:120]
	v_fma_f64 v[121:122], v[65:66], s[10:11], v[121:122]
	v_fma_f64 v[202:203], v[67:68], s[8:9], v[138:139]
	v_fma_f64 v[138:139], v[67:68], s[8:9], -v[138:139]
	v_add_f64 v[73:74], v[33:34], v[43:44]
	v_add_f64 v[75:76], v[57:58], v[45:46]
	;; [unrolled: 1-line block ×3, first 2 shown]
	v_add_f64 v[45:46], v[21:22], -v[25:26]
	v_add_f64 v[57:58], v[49:50], v[7:8]
	v_add_f64 v[43:44], v[29:30], v[17:18]
	v_add_f64 v[49:50], v[29:30], -v[17:18]
	v_fma_f64 v[162:163], v[55:56], s[8:9], v[91:92]
	v_fma_f64 v[91:92], v[55:56], s[8:9], -v[91:92]
	v_fma_f64 v[164:165], v[55:56], s[10:11], v[93:94]
	v_fma_f64 v[93:94], v[55:56], s[10:11], -v[93:94]
	;; [unrolled: 2-line block ×3, first 2 shown]
	v_fma_f64 v[170:171], v[51:52], s[6:7], -v[99:100]
	v_fma_f64 v[99:100], v[51:52], s[6:7], v[99:100]
	v_fma_f64 v[172:173], v[51:52], s[8:9], -v[101:102]
	v_fma_f64 v[101:102], v[51:52], s[8:9], v[101:102]
	;; [unrolled: 2-line block ×5, first 2 shown]
	v_fma_f64 v[190:191], v[53:54], s[14:15], v[123:124]
	v_fma_f64 v[194:195], v[53:54], s[6:7], v[130:131]
	v_fma_f64 v[130:131], v[53:54], s[6:7], -v[130:131]
	v_fma_f64 v[115:116], v[53:54], s[16:17], -v[115:116]
	;; [unrolled: 1-line block ×3, first 2 shown]
	v_fma_f64 v[196:197], v[53:54], s[8:9], v[132:133]
	v_fma_f64 v[132:133], v[53:54], s[8:9], -v[132:133]
	v_fma_f64 v[204:205], v[67:68], s[6:7], v[140:141]
	v_fma_f64 v[140:141], v[67:68], s[6:7], -v[140:141]
	;; [unrolled: 2-line block ×3, first 2 shown]
	v_fma_f64 v[208:209], v[65:66], s[8:9], -v[144:145]
	v_fma_f64 v[144:145], v[65:66], s[8:9], v[144:145]
	v_fma_f64 v[212:213], v[81:82], s[14:15], v[148:149]
	v_fma_f64 v[148:149], v[81:82], s[14:15], -v[148:149]
	v_add_f64 v[21:22], v[73:74], v[21:22]
	v_add_f64 v[23:24], v[75:76], v[23:24]
	v_mul_f64 v[73:74], v[61:62], s[18:19]
	v_mul_f64 v[75:76], v[61:62], s[24:25]
	;; [unrolled: 1-line block ×3, first 2 shown]
	s_mov_b32 s19, 0x3fddbe06
	v_fma_f64 v[184:185], v[57:58], s[16:17], -v[117:118]
	v_mul_f64 v[85:86], v[85:86], s[18:19]
	v_mul_f64 v[71:72], v[71:72], s[18:19]
	;; [unrolled: 1-line block ×3, first 2 shown]
	v_fma_f64 v[192:193], v[57:58], s[14:15], -v[128:129]
	v_fma_f64 v[198:199], v[57:58], s[6:7], -v[134:135]
	v_fma_f64 v[134:135], v[57:58], s[6:7], v[134:135]
	v_fma_f64 v[117:118], v[57:58], s[16:17], v[117:118]
	;; [unrolled: 1-line block ×3, first 2 shown]
	v_fma_f64 v[200:201], v[57:58], s[8:9], -v[136:137]
	v_fma_f64 v[136:137], v[57:58], s[8:9], v[136:137]
	v_add_f64 v[170:171], v[3:4], v[170:171]
	v_add_f64 v[99:100], v[3:4], v[99:100]
	;; [unrolled: 1-line block ×15, first 2 shown]
	v_fma_f64 v[220:221], v[77:78], s[10:11], -v[156:157]
	v_fma_f64 v[156:157], v[77:78], s[10:11], v[156:157]
	v_fma_f64 v[224:225], v[77:78], s[8:9], -v[214:215]
	v_fma_f64 v[214:215], v[77:78], s[8:9], v[214:215]
	;; [unrolled: 2-line block ×3, first 2 shown]
	v_add_f64 v[21:22], v[21:22], v[29:30]
	v_add_f64 v[23:24], v[23:24], v[31:32]
	v_mul_f64 v[29:30], v[83:84], s[26:27]
	v_mul_f64 v[31:32], v[87:88], s[20:21]
	;; [unrolled: 1-line block ×4, first 2 shown]
	v_fma_f64 v[158:159], v[55:56], s[0:1], v[73:74]
	v_fma_f64 v[73:74], v[55:56], s[0:1], -v[73:74]
	v_fma_f64 v[160:161], v[55:56], s[6:7], v[75:76]
	v_fma_f64 v[75:76], v[55:56], s[6:7], -v[75:76]
	;; [unrolled: 2-line block ×3, first 2 shown]
	v_fma_f64 v[61:62], v[51:52], s[0:1], -v[97:98]
	v_fma_f64 v[97:98], v[51:52], s[0:1], v[97:98]
	v_fma_f64 v[51:52], v[51:52], s[16:17], v[59:60]
	;; [unrolled: 1-line block ×3, first 2 shown]
	v_fma_f64 v[111:112], v[67:68], s[16:17], -v[111:112]
	v_fma_f64 v[228:229], v[77:78], s[6:7], -v[218:219]
	v_fma_f64 v[218:219], v[77:78], s[6:7], v[218:219]
	v_add_f64 v[91:92], v[115:116], v[91:92]
	v_add_f64 v[101:102], v[117:118], v[101:102]
	v_mul_f64 v[115:116], v[63:64], s[26:27]
	v_mul_f64 v[117:118], v[49:50], s[26:27]
	v_add_f64 v[93:94], v[123:124], v[93:94]
	v_add_f64 v[103:104], v[128:129], v[103:104]
	;; [unrolled: 1-line block ×3, first 2 shown]
	v_mul_f64 v[123:124], v[47:48], s[40:41]
	v_add_f64 v[95:96], v[132:133], v[95:96]
	v_add_f64 v[105:106], v[136:137], v[105:106]
	v_mul_f64 v[128:129], v[45:46], s[40:41]
	v_mul_f64 v[132:133], v[47:48], s[26:27]
	;; [unrolled: 1-line block ×3, first 2 shown]
	v_add_f64 v[17:18], v[21:22], v[17:18]
	v_add_f64 v[19:20], v[23:24], v[19:20]
	v_fma_f64 v[21:22], v[53:54], s[10:11], v[107:108]
	v_fma_f64 v[23:24], v[57:58], s[10:11], -v[109:110]
	v_fma_f64 v[107:108], v[53:54], s[10:11], -v[107:108]
	v_fma_f64 v[109:110], v[57:58], s[10:11], v[109:110]
	v_fma_f64 v[210:211], v[81:82], s[10:11], v[31:32]
	v_fma_f64 v[31:32], v[81:82], s[10:11], -v[31:32]
	v_add_f64 v[158:159], v[1:2], v[158:159]
	v_add_f64 v[73:74], v[1:2], v[73:74]
	;; [unrolled: 1-line block ×9, first 2 shown]
	v_fma_f64 v[51:52], v[81:82], s[8:9], v[150:151]
	v_fma_f64 v[55:56], v[81:82], s[8:9], -v[150:151]
	v_fma_f64 v[150:151], v[81:82], s[16:17], v[152:153]
	v_fma_f64 v[152:153], v[81:82], s[16:17], -v[152:153]
	v_add_f64 v[91:92], v[119:120], v[91:92]
	v_add_f64 v[101:102], v[121:122], v[101:102]
	v_fma_f64 v[119:120], v[39:40], s[14:15], -v[117:118]
	v_add_f64 v[166:167], v[204:205], v[166:167]
	v_fma_f64 v[121:122], v[41:42], s[16:17], v[123:124]
	v_add_f64 v[95:96], v[140:141], v[95:96]
	v_fma_f64 v[123:124], v[41:42], s[16:17], -v[123:124]
	v_fma_f64 v[140:141], v[41:42], s[10:11], v[136:137]
	v_fma_f64 v[136:137], v[41:42], s[10:11], -v[136:137]
	v_add_f64 v[17:18], v[17:18], v[25:26]
	v_add_f64 v[19:20], v[19:20], v[27:28]
	v_fma_f64 v[25:26], v[65:66], s[6:7], -v[146:147]
	v_fma_f64 v[27:28], v[65:66], s[6:7], v[146:147]
	v_fma_f64 v[146:147], v[65:66], s[14:15], -v[29:30]
	v_fma_f64 v[29:30], v[65:66], s[14:15], v[29:30]
	v_add_f64 v[23:24], v[23:24], v[170:171]
	v_add_f64 v[99:100], v[109:110], v[99:100]
	;; [unrolled: 1-line block ×10, first 2 shown]
	v_mul_f64 v[130:131], v[47:48], s[30:31]
	v_mul_f64 v[134:135], v[45:46], s[30:31]
	;; [unrolled: 1-line block ×7, first 2 shown]
	v_add_f64 v[13:14], v[17:18], v[13:14]
	v_add_f64 v[15:16], v[19:20], v[15:16]
	v_fma_f64 v[17:18], v[81:82], s[6:7], v[154:155]
	v_fma_f64 v[19:20], v[81:82], s[6:7], -v[154:155]
	v_fma_f64 v[154:155], v[53:54], s[0:1], v[71:72]
	v_fma_f64 v[53:54], v[53:54], s[0:1], -v[71:72]
	v_fma_f64 v[71:72], v[57:58], s[0:1], -v[69:70]
	v_fma_f64 v[57:58], v[57:58], s[0:1], v[69:70]
	v_fma_f64 v[69:70], v[67:68], s[0:1], v[85:86]
	v_fma_f64 v[67:68], v[67:68], s[0:1], -v[85:86]
	v_fma_f64 v[85:86], v[65:66], s[0:1], -v[83:84]
	v_fma_f64 v[65:66], v[65:66], s[0:1], v[83:84]
	v_fma_f64 v[83:84], v[81:82], s[0:1], v[87:88]
	v_fma_f64 v[81:82], v[81:82], s[0:1], -v[87:88]
	v_mul_f64 v[87:88], v[79:80], s[34:35]
	v_mul_f64 v[79:80], v[79:80], s[18:19]
	v_add_f64 v[21:22], v[59:60], v[21:22]
	v_add_f64 v[23:24], v[180:181], v[23:24]
	;; [unrolled: 1-line block ×11, first 2 shown]
	v_mul_f64 v[59:60], v[63:64], s[30:31]
	v_mul_f64 v[180:181], v[49:50], s[30:31]
	v_fma_f64 v[184:185], v[41:42], s[6:7], v[107:108]
	v_fma_f64 v[111:112], v[33:34], s[6:7], -v[109:110]
	v_fma_f64 v[172:173], v[41:42], s[14:15], v[132:133]
	v_fma_f64 v[132:133], v[41:42], s[14:15], -v[132:133]
	v_fma_f64 v[107:108], v[41:42], s[6:7], -v[107:108]
	v_fma_f64 v[113:114], v[43:44], s[14:15], v[115:116]
	v_add_f64 v[9:10], v[13:14], v[9:10]
	v_add_f64 v[11:12], v[15:16], v[11:12]
	v_fma_f64 v[15:16], v[33:34], s[8:9], v[134:135]
	v_add_f64 v[154:155], v[154:155], v[168:169]
	v_add_f64 v[1:2], v[53:54], v[1:2]
	;; [unrolled: 1-line block ×4, first 2 shown]
	v_mul_f64 v[168:169], v[45:46], s[26:27]
	v_mul_f64 v[45:46], v[45:46], s[18:19]
	v_add_f64 v[67:68], v[67:68], v[93:94]
	v_add_f64 v[65:66], v[65:66], v[103:104]
	v_mul_f64 v[53:54], v[63:64], s[22:23]
	v_mul_f64 v[57:58], v[63:64], s[20:21]
	v_fma_f64 v[222:223], v[77:78], s[14:15], -v[87:88]
	v_fma_f64 v[87:88], v[77:78], s[14:15], v[87:88]
	v_fma_f64 v[230:231], v[77:78], s[0:1], -v[79:80]
	v_fma_f64 v[77:78], v[77:78], s[0:1], v[79:80]
	v_add_f64 v[79:80], v[182:183], v[162:163]
	v_add_f64 v[162:163], v[190:191], v[164:165]
	;; [unrolled: 1-line block ×3, first 2 shown]
	v_mul_f64 v[174:175], v[49:50], s[38:39]
	v_mul_f64 v[178:179], v[49:50], s[20:21]
	;; [unrolled: 1-line block ×5, first 2 shown]
	v_fma_f64 v[93:94], v[33:34], s[16:17], -v[128:129]
	v_add_f64 v[21:22], v[212:213], v[21:22]
	v_add_f64 v[138:139], v[210:211], v[158:159]
	;; [unrolled: 1-line block ×10, first 2 shown]
	v_fma_f64 v[103:104], v[43:44], s[6:7], v[170:171]
	v_add_f64 v[5:6], v[9:10], v[5:6]
	v_fma_f64 v[97:98], v[43:44], s[6:7], -v[170:171]
	v_add_f64 v[105:106], v[206:207], v[154:155]
	v_add_f64 v[1:2], v[142:143], v[1:2]
	;; [unrolled: 1-line block ×4, first 2 shown]
	v_fma_f64 v[29:30], v[33:34], s[14:15], -v[168:169]
	v_fma_f64 v[13:14], v[33:34], s[14:15], v[168:169]
	v_add_f64 v[55:56], v[55:56], v[67:68]
	v_add_f64 v[65:66], v[214:215], v[65:66]
	;; [unrolled: 1-line block ×3, first 2 shown]
	v_fma_f64 v[9:10], v[43:44], s[16:17], v[53:54]
	v_add_f64 v[23:24], v[222:223], v[23:24]
	v_add_f64 v[87:88], v[87:88], v[99:100]
	v_fma_f64 v[53:54], v[43:44], s[16:17], -v[53:54]
	v_add_f64 v[77:78], v[77:78], v[101:102]
	v_add_f64 v[79:80], v[186:187], v[79:80]
	;; [unrolled: 1-line block ×4, first 2 shown]
	v_fma_f64 v[162:163], v[41:42], s[8:9], v[130:131]
	v_fma_f64 v[164:165], v[33:34], s[8:9], -v[134:135]
	v_fma_f64 v[130:131], v[41:42], s[8:9], -v[130:131]
	v_fma_f64 v[134:135], v[41:42], s[0:1], v[47:48]
	v_fma_f64 v[41:42], v[41:42], s[0:1], -v[47:48]
	v_fma_f64 v[47:48], v[33:34], s[0:1], -v[45:46]
	;; [unrolled: 3-line block ×3, first 2 shown]
	v_fma_f64 v[99:100], v[43:44], s[10:11], v[57:58]
	v_fma_f64 v[57:58], v[43:44], s[10:11], -v[57:58]
	v_fma_f64 v[101:102], v[43:44], s[8:9], v[59:60]
	v_fma_f64 v[59:60], v[43:44], s[8:9], -v[59:60]
	v_add_f64 v[17:18], v[17:18], v[105:106]
	v_add_f64 v[1:2], v[19:20], v[1:2]
	;; [unrolled: 1-line block ×4, first 2 shown]
	v_fma_f64 v[19:20], v[43:44], s[0:1], v[63:64]
	v_fma_f64 v[105:106], v[39:40], s[8:9], -v[180:181]
	v_add_f64 v[55:56], v[123:124], v[55:56]
	v_add_f64 v[61:62], v[29:30], v[61:62]
	;; [unrolled: 1-line block ×6, first 2 shown]
	v_fma_f64 v[107:108], v[39:40], s[8:9], v[180:181]
	v_add_f64 v[79:80], v[83:84], v[79:80]
	v_add_f64 v[83:84], v[230:231], v[160:161]
	v_add_f64 v[51:52], v[51:52], v[69:70]
	v_add_f64 v[69:70], v[224:225], v[85:86]
	v_fma_f64 v[85:86], v[33:34], s[6:7], v[109:110]
	v_fma_f64 v[109:110], v[33:34], s[16:17], v[128:129]
	v_fma_f64 v[128:129], v[33:34], s[10:11], -v[176:177]
	v_fma_f64 v[33:34], v[33:34], s[10:11], v[176:177]
	v_add_f64 v[21:22], v[162:163], v[21:22]
	v_add_f64 v[23:24], v[164:165], v[23:24]
	;; [unrolled: 1-line block ×10, first 2 shown]
                                        ; implicit-def: $vgpr55_vgpr56
	v_add_f64 v[79:80], v[184:185], v[79:80]
	v_add_f64 v[83:84], v[111:112], v[83:84]
	;; [unrolled: 1-line block ×5, first 2 shown]
	v_fma_f64 v[11:12], v[43:44], s[14:15], -v[115:116]
	v_fma_f64 v[43:44], v[43:44], s[0:1], -v[63:64]
	v_add_f64 v[63:64], v[172:173], v[138:139]
	v_add_f64 v[77:78], v[85:86], v[77:78]
	;; [unrolled: 1-line block ×4, first 2 shown]
	v_fma_f64 v[17:18], v[39:40], s[10:11], -v[178:179]
	v_add_f64 v[71:72], v[128:129], v[71:72]
	v_add_f64 v[3:4], v[33:34], v[3:4]
	v_fma_f64 v[109:110], v[39:40], s[10:11], v[178:179]
	v_fma_f64 v[111:112], v[39:40], s[6:7], v[174:175]
	;; [unrolled: 1-line block ×4, first 2 shown]
	v_fma_f64 v[121:122], v[39:40], s[16:17], -v[182:183]
	v_fma_f64 v[39:40], v[39:40], s[16:17], v[182:183]
	v_add_f64 v[25:26], v[19:20], v[21:22]
	v_add_f64 v[27:28], v[95:96], v[23:24]
	;; [unrolled: 1-line block ×3, first 2 shown]
	s_mov_b32 s1, exec_lo
	v_add_f64 v[33:34], v[59:60], v[91:92]
                                        ; implicit-def: $vgpr59_vgpr60
	v_add_f64 v[21:22], v[113:114], v[79:80]
	v_add_f64 v[23:24], v[119:120], v[83:84]
	v_add_f64 v[5:6], v[103:104], v[51:52]
	v_add_f64 v[7:8], v[186:187], v[69:70]
	v_add_f64 v[49:50], v[11:12], v[15:16]
	v_add_f64 v[45:46], v[43:44], v[75:76]
	v_add_f64 v[9:10], v[9:10], v[63:64]
                                        ; implicit-def: $vgpr63_vgpr64
	v_add_f64 v[15:16], v[17:18], v[47:48]
	v_add_f64 v[17:18], v[57:58], v[41:42]
	;; [unrolled: 1-line block ×13, first 2 shown]
	v_mad_u32_u24 v53, 0x750, v89, 0
	s_delay_alu instid0(VALU_DEP_1)
	v_lshl_add_u32 v54, v90, 4, v53
	ds_store_b128 v54, v[25:28] offset:288
	ds_store_b128 v54, v[21:24] offset:432
	;; [unrolled: 1-line block ×11, first 2 shown]
	ds_store_b128 v54, v[1:4]
	ds_store_b128 v54, v[37:40] offset:1728
	s_waitcnt lgkmcnt(0)
	s_barrier
	buffer_gl0_inv
	v_cmpx_gt_u32_e32 0x75, v0
	s_cbranch_execz .LBB0_42
; %bb.41:
	v_mul_i32_i24_e32 v1, 0xfffff940, v89
	v_lshlrev_b32_e32 v2, 4, v90
	s_delay_alu instid0(VALU_DEP_1)
	v_add3_u32 v57, v53, v1, v2
	ds_load_b128 v[1:4], v57
	ds_load_b128 v[9:12], v57 offset:1872
	ds_load_b128 v[25:28], v57 offset:3744
	ds_load_b128 v[21:24], v57 offset:5616
	ds_load_b128 v[5:8], v57 offset:7488
	ds_load_b128 v[13:16], v57 offset:9360
	ds_load_b128 v[41:44], v57 offset:11232
	ds_load_b128 v[33:36], v57 offset:13104
	ds_load_b128 v[17:20], v57 offset:14976
	ds_load_b128 v[29:32], v57 offset:16848
	ds_load_b128 v[49:52], v57 offset:18720
	ds_load_b128 v[45:48], v57 offset:20592
	ds_load_b128 v[37:40], v57 offset:22464
	ds_load_b128 v[53:56], v57 offset:24336
	ds_load_b128 v[61:64], v57 offset:26208
	ds_load_b128 v[57:60], v57 offset:28080
.LBB0_42:
	s_or_b32 exec_lo, exec_lo, s1
	v_cmp_gt_u32_e64 s1, 0x75, v0
	v_cmp_lt_u32_e64 s0, 0x74, v0
	v_cndmask_b32_e64 v66, 0, 1, vcc_lo
	s_delay_alu instid0(VALU_DEP_3) | instskip(NEXT) | instid1(VALU_DEP_3)
	v_cndmask_b32_e64 v65, 0, 1, s1
	s_or_b32 vcc_lo, s0, s33
	s_mov_b32 s0, exec_lo
	s_delay_alu instid0(VALU_DEP_1) | instskip(NEXT) | instid1(VALU_DEP_1)
	v_cndmask_b32_e32 v65, v66, v65, vcc_lo
	v_and_b32_e32 v65, 1, v65
	s_delay_alu instid0(VALU_DEP_1)
	v_cmpx_eq_u32_e32 1, v65
	s_cbranch_execz .LBB0_44
; %bb.43:
	v_mul_hi_u32 v65, 0x13b13b14, v89
	v_mul_hi_u32 v0, 0x2302303, v0
	v_add_nc_u32_e32 v127, s13, v127
	v_mul_lo_u32 v173, v125, -13
	s_add_i32 s6, 0, 0x7500
	s_mov_b32 s1, 0xbfe6a09e
	s_mov_b32 s13, 0xbfed906b
	;; [unrolled: 1-line block ×3, first 2 shown]
	v_mul_u32_u24_e32 v65, 13, v65
	v_mul_u32_u24_e32 v0, 0xd0, v0
	s_mov_b32 s11, 0xbfd87de2
	s_mov_b32 s9, 0x3fd87de2
	;; [unrolled: 1-line block ×3, first 2 shown]
	v_sub_nc_u32_e32 v126, v89, v65
	s_delay_alu instid0(VALU_DEP_1) | instskip(SKIP_3) | instid1(VALU_DEP_4)
	v_mul_u32_u24_e32 v65, 15, v126
	v_add_nc_u32_e32 v128, 0xc3, v126
	v_or_b32_e32 v129, v0, v126
	v_mul_lo_u32 v0, v126, v125
	v_lshlrev_b32_e32 v85, 4, v65
	s_delay_alu instid0(VALU_DEP_4) | instskip(NEXT) | instid1(VALU_DEP_4)
	v_mul_lo_u32 v130, v128, v125
	v_mad_u64_u32 v[125:126], null, s12, v129, v[127:128]
	v_mov_b32_e32 v126, 0
	s_clause 0xe
	global_load_b128 v[65:68], v85, s[4:5] offset:16
	global_load_b128 v[77:80], v85, s[4:5] offset:144
	;; [unrolled: 1-line block ×8, first 2 shown]
	global_load_b128 v[113:116], v85, s[4:5]
	global_load_b128 v[105:108], v85, s[4:5] offset:128
	global_load_b128 v[97:100], v85, s[4:5] offset:64
	;; [unrolled: 1-line block ×6, first 2 shown]
	v_add_nc_u32_e32 v131, 13, v129
	v_add_nc_u32_e32 v132, 26, v129
	;; [unrolled: 1-line block ×15, first 2 shown]
	v_mad_u64_u32 v[128:129], null, s12, v131, v[127:128]
	v_lshrrev_b32_e32 v174, 1, v0
	v_lshrrev_b32_e32 v131, 1, v130
	v_dual_mov_b32 v129, v126 :: v_dual_and_b32 v146, 31, v0
	s_mov_b32 s4, 0x667f3bcd
	s_mov_b32 s5, 0x3fe6a09e
	s_delay_alu instid0(VALU_DEP_4)
	v_mad_u64_u32 v[171:172], null, s12, v133, v[127:128]
	v_mov_b32_e32 v172, v126
	v_mad_u64_u32 v[161:162], null, s12, v138, v[127:128]
	v_mov_b32_e32 v162, v126
	v_mad_u64_u32 v[159:160], null, s12, v139, v[127:128]
	v_mad_u64_u32 v[165:166], null, s12, v136, v[127:128]
	;; [unrolled: 1-line block ×4, first 2 shown]
	v_mov_b32_e32 v160, v126
	v_mad_u64_u32 v[155:156], null, s12, v141, v[127:128]
	v_mov_b32_e32 v156, v126
	v_mad_u64_u32 v[210:211], null, s12, v132, v[127:128]
	v_mad_u64_u32 v[169:170], null, s12, v134, v[127:128]
	;; [unrolled: 1-line block ×5, first 2 shown]
	v_mov_b32_e32 v166, v126
	v_mad_u64_u32 v[167:168], null, s12, v135, v[127:128]
	v_mov_b32_e32 v158, v126
	v_mad_u64_u32 v[151:152], null, s12, v143, v[127:128]
	v_dual_mov_b32 v154, v126 :: v_dual_and_b32 v127, 31, v130
	v_add_nc_u32_e32 v132, v130, v173
	v_mov_b32_e32 v211, v126
	v_mov_b32_e32 v170, v126
	;; [unrolled: 1-line block ×6, first 2 shown]
	v_and_b32_e32 v136, 0x1f0, v174
	v_lshlrev_b64 v[133:134], 4, v[125:126]
	v_lshl_add_u32 v125, v127, 4, 0
	v_lshrrev_b32_e32 v127, 6, v132
	v_mov_b32_e32 v150, v126
	v_and_b32_e32 v126, 0x1f0, v131
	v_lshrrev_b32_e32 v137, 1, v132
	v_lshl_add_u32 v135, v146, 4, 0
	v_and_b32_e32 v127, 0x1f0, v127
	v_and_b32_e32 v131, 31, v132
	v_add_nc_u32_e32 v136, s6, v136
	v_add_nc_u32_e32 v126, s6, v126
	v_lshlrev_b64 v[212:213], 4, v[128:129]
	v_and_b32_e32 v128, 0x1f0, v137
	ds_load_b128 v[141:144], v135 offset:29952
	ds_load_b128 v[174:177], v136 offset:512
	;; [unrolled: 1-line block ×4, first 2 shown]
	v_lshl_add_u32 v125, v131, 4, 0
	v_add_nc_u32_e32 v132, v132, v173
	v_add_nc_u32_e32 v128, s6, v128
	ds_load_b128 v[186:189], v125 offset:29952
	ds_load_b128 v[190:193], v128 offset:512
	v_lshrrev_b32_e32 v130, 6, v130
	v_lshrrev_b32_e32 v129, 1, v132
	v_add_nc_u32_e32 v135, v132, v173
	v_and_b32_e32 v126, 31, v132
	v_add_nc_u32_e32 v127, s6, v127
	v_and_b32_e32 v130, 0x1f0, v130
	v_and_b32_e32 v138, 0x1f0, v129
	v_lshrrev_b32_e32 v145, 1, v135
	v_lshl_add_u32 v137, v126, 4, 0
	v_and_b32_e32 v140, 31, v135
	v_add_nc_u32_e32 v130, s6, v130
	s_waitcnt lgkmcnt(4)
	v_mul_f64 v[214:215], v[143:144], v[176:177]
	v_mul_f64 v[176:177], v[141:142], v[176:177]
	s_waitcnt lgkmcnt(2)
	v_mul_f64 v[216:217], v[180:181], v[184:185]
	v_mul_f64 v[184:185], v[178:179], v[184:185]
	v_add_nc_u32_e32 v138, s6, v138
	v_and_b32_e32 v145, 0x1f0, v145
	v_lshrrev_b32_e32 v136, 6, v132
	ds_load_b128 v[129:132], v130 offset:1024
	ds_load_b128 v[125:128], v127 offset:1024
	s_waitcnt lgkmcnt(2)
	v_mul_f64 v[218:219], v[188:189], v[192:193]
	v_mul_f64 v[192:193], v[186:187], v[192:193]
	ds_load_b128 v[194:197], v137 offset:29952
	ds_load_b128 v[198:201], v138 offset:512
	v_lshl_add_u32 v137, v140, 4, 0
	v_add_nc_u32_e32 v138, s6, v145
	ds_load_b128 v[202:205], v137 offset:29952
	ds_load_b128 v[206:209], v138 offset:512
	v_lshrrev_b32_e32 v139, 6, v135
	v_add_nc_u32_e32 v135, v135, v173
	v_and_b32_e32 v136, 0x1f0, v136
	v_add_co_u32 v145, vcc_lo, s2, v133
	s_delay_alu instid0(VALU_DEP_4) | instskip(NEXT) | instid1(VALU_DEP_4)
	v_and_b32_e32 v139, 0x1f0, v139
	v_and_b32_e32 v222, 31, v135
	v_lshrrev_b32_e32 v223, 1, v135
	v_add_nc_u32_e32 v224, v135, v173
	v_lshrrev_b32_e32 v225, 6, v135
	v_add_nc_u32_e32 v133, s6, v136
	v_lshl_add_u32 v226, v222, 4, 0
	v_and_b32_e32 v227, 0x1f0, v223
	s_waitcnt lgkmcnt(2)
	v_mul_f64 v[220:221], v[196:197], v[200:201]
	v_mul_f64 v[200:201], v[194:195], v[200:201]
	v_lshrrev_b32_e32 v228, 6, v224
	v_add_co_ci_u32_e32 v146, vcc_lo, s3, v134, vcc_lo
	v_add_nc_u32_e32 v134, s6, v139
	ds_load_b128 v[137:140], v133 offset:1024
	ds_load_b128 v[133:136], v134 offset:1024
	v_fma_f64 v[214:215], v[141:142], v[174:175], -v[214:215]
	s_waitcnt lgkmcnt(2)
	v_mul_f64 v[141:142], v[204:205], v[208:209]
	v_fma_f64 v[222:223], v[174:175], v[143:144], v[176:177]
	v_mul_f64 v[143:144], v[202:203], v[208:209]
	v_fma_f64 v[178:179], v[178:179], v[182:183], -v[216:217]
	v_fma_f64 v[180:181], v[180:181], v[182:183], v[184:185]
	v_fma_f64 v[186:187], v[186:187], v[190:191], -v[218:219]
	v_fma_f64 v[188:189], v[188:189], v[190:191], v[192:193]
	v_add_nc_u32_e32 v176, v224, v173
	v_and_b32_e32 v174, 31, v224
	v_lshrrev_b32_e32 v175, 1, v224
	v_and_b32_e32 v177, 0x1f0, v225
	v_and_b32_e32 v209, 0x1f0, v228
	v_lshrrev_b32_e32 v217, 1, v176
	v_lshl_add_u32 v216, v174, 4, 0
	v_and_b32_e32 v174, 0x1f0, v175
	v_add_nc_u32_e32 v208, s6, v227
	v_and_b32_e32 v175, 31, v176
	v_add_nc_u32_e32 v218, v176, v173
	v_lshrrev_b32_e32 v176, 6, v176
	v_and_b32_e32 v217, 0x1f0, v217
	v_add_nc_u32_e32 v219, s6, v177
	v_add_nc_u32_e32 v209, s6, v209
	;; [unrolled: 1-line block ×3, first 2 shown]
	v_lshl_add_u32 v225, v175, 4, 0
	v_and_b32_e32 v228, 0x1f0, v176
	v_lshrrev_b32_e32 v227, 1, v218
	s_mov_b32 s0, s4
	v_fma_f64 v[194:195], v[194:195], v[198:199], -v[220:221]
	v_fma_f64 v[196:197], v[196:197], v[198:199], v[200:201]
	v_lshrrev_b32_e32 v220, 6, v218
	v_and_b32_e32 v221, 31, v218
	v_add_nc_u32_e32 v218, v218, v173
	v_add_co_u32 v212, vcc_lo, s2, v212
	v_lshlrev_b64 v[171:172], 4, v[171:172]
	v_add_co_ci_u32_e32 v213, vcc_lo, s3, v213, vcc_lo
	v_lshlrev_b64 v[169:170], 4, v[169:170]
	v_fma_f64 v[198:199], v[202:203], v[206:207], -v[141:142]
	v_lshlrev_b64 v[167:168], 4, v[167:168]
	v_fma_f64 v[200:201], v[204:205], v[206:207], v[143:144]
	ds_load_b128 v[174:177], v226 offset:29952
	ds_load_b128 v[141:144], v219 offset:1024
	v_and_b32_e32 v219, 0x1f0, v220
	v_lshl_add_u32 v220, v221, 4, 0
	v_and_b32_e32 v221, 0x1f0, v227
	v_lshlrev_b64 v[165:166], 4, v[165:166]
	v_lshlrev_b64 v[163:164], 4, v[163:164]
	v_add_nc_u32_e32 v226, s6, v219
	v_lshlrev_b64 v[161:162], 4, v[161:162]
	v_add_nc_u32_e32 v221, s6, v221
	v_lshlrev_b64 v[159:160], 4, v[159:160]
	v_lshlrev_b64 v[157:158], 4, v[157:158]
	;; [unrolled: 1-line block ×7, first 2 shown]
	s_waitcnt vmcnt(14)
	v_mul_f64 v[182:183], v[25:26], v[67:68]
	v_mul_f64 v[67:68], v[27:28], v[67:68]
	s_waitcnt vmcnt(13)
	v_mul_f64 v[184:185], v[49:50], v[79:80]
	v_mul_f64 v[79:80], v[51:52], v[79:80]
	;; [unrolled: 3-line block ×6, first 2 shown]
	v_fma_f64 v[182:183], v[27:28], v[65:66], -v[182:183]
	v_fma_f64 v[204:205], v[25:26], v[65:66], v[67:68]
	ds_load_b128 v[65:68], v208 offset:512
	ds_load_b128 v[25:28], v209 offset:1024
	v_fma_f64 v[184:185], v[51:52], v[77:78], -v[184:185]
	v_fma_f64 v[208:209], v[49:50], v[77:78], v[79:80]
	s_waitcnt vmcnt(8)
	v_mul_f64 v[77:78], v[35:36], v[119:120]
	v_mul_f64 v[79:80], v[33:34], v[119:120]
	v_fma_f64 v[119:120], v[41:42], v[73:74], v[190:191]
	v_fma_f64 v[190:191], v[43:44], v[73:74], -v[75:76]
	ds_load_b128 v[41:44], v216 offset:29952
	ds_load_b128 v[49:52], v224 offset:512
	v_add_nc_u32_e32 v224, s6, v217
	s_waitcnt vmcnt(7)
	v_mul_f64 v[73:74], v[59:60], v[123:124]
	v_mul_f64 v[75:76], v[57:58], v[123:124]
	v_fma_f64 v[192:193], v[61:62], v[69:70], v[192:193]
	v_fma_f64 v[216:217], v[63:64], v[69:70], -v[71:72]
	s_waitcnt vmcnt(5)
	v_mul_f64 v[69:70], v[29:30], v[107:108]
	v_mul_f64 v[123:124], v[9:10], v[115:116]
	;; [unrolled: 1-line block ×3, first 2 shown]
	v_add_nc_u32_e32 v115, v218, v173
	v_lshrrev_b32_e32 v116, 6, v218
	v_mul_f64 v[71:72], v[31:32], v[107:108]
	v_and_b32_e32 v63, 31, v218
	v_lshrrev_b32_e32 v64, 1, v218
	v_add_nc_u32_e32 v218, s6, v228
	v_fma_f64 v[107:108], v[23:24], v[101:102], -v[202:203]
	v_fma_f64 v[101:102], v[21:22], v[101:102], v[103:104]
	s_waitcnt vmcnt(4)
	v_mul_f64 v[103:104], v[15:16], v[99:100]
	v_mul_f64 v[99:100], v[13:14], v[99:100]
	v_lshrrev_b32_e32 v229, 6, v115
	v_and_b32_e32 v230, 31, v115
	v_lshrrev_b32_e32 v231, 1, v115
	v_add_nc_u32_e32 v232, v115, v173
	v_and_b32_e32 v233, 0x1f0, v116
	v_fma_f64 v[115:116], v[47:48], v[109:110], -v[206:207]
	v_fma_f64 v[109:110], v[45:46], v[109:110], v[111:112]
	ds_load_b128 v[45:48], v225 offset:29952
	ds_load_b128 v[21:24], v218 offset:1024
	s_waitcnt vmcnt(3)
	v_mul_f64 v[111:112], v[55:56], v[95:96]
	s_waitcnt vmcnt(0)
	v_mul_f64 v[206:207], v[39:40], v[87:88]
	v_lshl_add_u32 v227, v63, 4, 0
	v_and_b32_e32 v228, 0x1f0, v64
	v_add_f64 v[184:185], v[182:183], -v[184:185]
	v_add_f64 v[208:209], v[204:205], -v[208:209]
	v_fma_f64 v[202:203], v[33:34], v[117:118], v[77:78]
	v_fma_f64 v[117:118], v[35:36], v[117:118], -v[79:80]
	v_mul_f64 v[77:78], v[53:54], v[95:96]
	v_mul_f64 v[79:80], v[17:18], v[91:92]
	;; [unrolled: 1-line block ×3, first 2 shown]
	v_add_nc_u32_e32 v234, s6, v228
	v_fma_f64 v[218:219], v[57:58], v[121:122], v[73:74]
	v_fma_f64 v[121:122], v[59:60], v[121:122], -v[75:76]
	v_mul_f64 v[73:74], v[19:20], v[91:92]
	v_mul_f64 v[75:76], v[5:6], v[83:84]
	v_fma_f64 v[83:84], v[31:32], v[105:106], -v[69:70]
	v_mul_f64 v[69:70], v[37:38], v[87:88]
	ds_load_b128 v[57:60], v224 offset:512
	ds_load_b128 v[33:36], v226 offset:1024
	v_fma_f64 v[91:92], v[11:12], v[113:114], -v[123:124]
	s_waitcnt lgkmcnt(7)
	v_mul_f64 v[87:88], v[176:177], v[67:68]
	v_mul_f64 v[123:124], v[174:175], v[67:68]
	v_fma_f64 v[113:114], v[9:10], v[113:114], v[61:62]
	ds_load_b128 v[9:12], v220 offset:29952
	ds_load_b128 v[61:64], v221 offset:512
	v_and_b32_e32 v220, 0x1f0, v229
	v_fma_f64 v[105:106], v[29:30], v[105:106], v[71:72]
	v_and_b32_e32 v29, 0x1f0, v231
	v_and_b32_e32 v30, 31, v232
	v_lshrrev_b32_e32 v31, 1, v232
	v_add_nc_u32_e32 v32, v232, v173
	v_lshrrev_b32_e32 v226, 6, v232
	v_add_nc_u32_e32 v72, s6, v233
	v_add_nc_u32_e32 v67, s6, v220
	v_fma_f64 v[103:104], v[13:14], v[97:98], v[103:104]
	v_fma_f64 v[97:98], v[15:16], v[97:98], -v[99:100]
	s_waitcnt lgkmcnt(6)
	v_mul_f64 v[99:100], v[43:44], v[51:52]
	v_mul_f64 v[220:221], v[41:42], v[51:52]
	v_add_nc_u32_e32 v68, s6, v29
	v_lshl_add_u32 v232, v30, 4, 0
	v_and_b32_e32 v233, 0x1f0, v31
	v_lshrrev_b32_e32 v235, 6, v32
	v_and_b32_e32 v236, 31, v32
	v_lshrrev_b32_e32 v237, 1, v32
	v_add_nc_u32_e32 v238, v32, v173
	v_fma_f64 v[206:207], v[37:38], v[85:86], v[206:207]
	v_fma_f64 v[111:112], v[53:54], v[93:94], v[111:112]
	v_fma_f64 v[55:56], v[55:56], v[93:94], -v[77:78]
	v_fma_f64 v[224:225], v[19:20], v[89:90], -v[79:80]
	v_fma_f64 v[95:96], v[5:6], v[81:82], v[95:96]
	ds_load_b128 v[13:16], v227 offset:29952
	ds_load_b128 v[29:32], v72 offset:1024
	v_and_b32_e32 v72, 0x1f0, v226
	s_waitcnt lgkmcnt(5)
	v_mul_f64 v[93:94], v[47:48], v[59:60]
	v_fma_f64 v[89:90], v[17:18], v[89:90], v[73:74]
	v_mul_f64 v[59:60], v[45:46], v[59:60]
	v_fma_f64 v[226:227], v[7:8], v[81:82], -v[75:76]
	v_fma_f64 v[85:86], v[39:40], v[85:86], -v[69:70]
	v_lshl_add_u32 v71, v230, 4, 0
	s_waitcnt lgkmcnt(2)
	v_mul_f64 v[228:229], v[11:12], v[63:64]
	v_mul_f64 v[230:231], v[9:10], v[63:64]
	v_and_b32_e32 v64, 0x1f0, v235
	ds_load_b128 v[17:20], v71 offset:29952
	ds_load_b128 v[51:54], v68 offset:512
	;; [unrolled: 1-line block ×4, first 2 shown]
	v_add_nc_u32_e32 v63, s6, v233
	v_and_b32_e32 v67, 0x1f0, v237
	v_add_nc_u32_e32 v71, s6, v72
	v_add_nc_u32_e32 v75, s6, v64
	v_fma_f64 v[87:88], v[174:175], v[65:66], -v[87:88]
	v_fma_f64 v[123:124], v[176:177], v[65:66], v[123:124]
	v_add_nc_u32_e32 v80, s6, v67
	ds_load_b128 v[67:70], v232 offset:29952
	ds_load_b128 v[71:74], v71 offset:1024
	;; [unrolled: 1-line block ×4, first 2 shown]
	v_lshl_add_u32 v79, v236, 4, 0
	v_fma_f64 v[99:100], v[41:42], v[49:50], -v[99:100]
	v_fma_f64 v[49:50], v[43:44], v[49:50], v[220:221]
	ds_load_b128 v[41:44], v79 offset:29952
	ds_load_b128 v[79:82], v80 offset:512
	v_add_f64 v[192:193], v[119:120], -v[192:193]
	v_add_f64 v[83:84], v[91:92], -v[83:84]
	v_add_f64 v[115:116], v[107:108], -v[115:116]
	s_waitcnt lgkmcnt(7)
	v_mul_f64 v[174:175], v[15:16], v[7:8]
	v_mul_f64 v[7:8], v[13:14], v[7:8]
	v_add_f64 v[111:112], v[103:104], -v[111:112]
	v_add_f64 v[218:219], v[202:203], -v[218:219]
	v_add_f64 v[176:177], v[3:4], -v[224:225]
	v_add_f64 v[206:207], v[95:96], -v[206:207]
	v_add_f64 v[109:110], v[101:102], -v[109:110]
	v_add_f64 v[121:122], v[117:118], -v[121:122]
	v_fma_f64 v[93:94], v[45:46], v[57:58], -v[93:94]
	v_mul_f64 v[45:46], v[19:20], v[53:54]
	v_fma_f64 v[57:58], v[47:48], v[57:58], v[59:60]
	v_mul_f64 v[47:48], v[17:18], v[53:54]
	s_waitcnt lgkmcnt(3)
	v_mul_f64 v[53:54], v[69:70], v[65:66]
	v_mul_f64 v[59:60], v[67:68], v[65:66]
	v_add_f64 v[105:106], v[113:114], -v[105:106]
	v_add_f64 v[55:56], v[97:98], -v[55:56]
	;; [unrolled: 1-line block ×5, first 2 shown]
	s_waitcnt lgkmcnt(0)
	v_mul_f64 v[220:221], v[43:44], v[81:82]
	v_mul_f64 v[81:82], v[41:42], v[81:82]
	v_fma_f64 v[65:66], v[9:10], v[61:62], -v[228:229]
	v_lshrrev_b32_e32 v9, 1, v238
	v_add_nc_u32_e32 v10, v238, v173
	v_and_b32_e32 v233, 31, v238
	v_fma_f64 v[61:62], v[11:12], v[61:62], v[230:231]
	v_lshrrev_b32_e32 v11, 6, v238
	v_and_b32_e32 v9, 0x1f0, v9
	v_lshrrev_b32_e32 v238, 6, v10
	v_and_b32_e32 v239, 31, v10
	v_add_nc_u32_e32 v240, v10, v173
	v_lshrrev_b32_e32 v10, 1, v10
	v_add_nc_u32_e32 v9, s6, v9
	v_lshl_add_u32 v12, v233, 4, 0
	v_fma_f64 v[182:183], v[182:183], 2.0, -v[184:185]
	v_add_f64 v[230:231], v[184:185], -v[192:193]
	v_fma_f64 v[91:92], v[91:92], 2.0, -v[83:84]
	v_fma_f64 v[107:108], v[107:108], 2.0, -v[115:116]
	v_fma_f64 v[173:174], v[13:14], v[5:6], -v[174:175]
	v_fma_f64 v[224:225], v[15:16], v[5:6], v[7:8]
	v_and_b32_e32 v13, 0x1f0, v11
	v_and_b32_e32 v14, 0x1f0, v10
	ds_load_b128 v[5:8], v9 offset:512
	ds_load_b128 v[9:12], v12 offset:29952
	v_add_f64 v[228:229], v[176:177], -v[206:207]
	v_add_f64 v[232:233], v[83:84], -v[111:112]
	;; [unrolled: 1-line block ×3, first 2 shown]
	v_and_b32_e32 v15, 0x1f0, v238
	v_fma_f64 v[236:237], v[17:18], v[51:52], -v[45:46]
	v_lshl_add_u32 v17, v239, 4, 0
	v_add_nc_u32_e32 v13, s6, v13
	v_fma_f64 v[53:54], v[67:68], v[63:64], -v[53:54]
	v_fma_f64 v[59:60], v[69:70], v[63:64], v[59:60]
	v_add_f64 v[63:64], v[109:110], v[121:122]
	v_add_f64 v[67:68], v[105:106], v[55:56]
	;; [unrolled: 1-line block ×3, first 2 shown]
	v_add_nc_u32_e32 v45, s6, v14
	v_add_f64 v[238:239], v[89:90], v[85:86]
	v_fma_f64 v[51:52], v[19:20], v[51:52], v[47:48]
	v_add_nc_u32_e32 v46, s6, v15
	v_fma_f64 v[220:221], v[41:42], v[79:80], -v[220:221]
	v_fma_f64 v[79:80], v[43:44], v[79:80], v[81:82]
	ds_load_b128 v[13:16], v13 offset:1024
	ds_load_b128 v[17:20], v17 offset:29952
	;; [unrolled: 1-line block ×3, first 2 shown]
	v_fma_f64 v[81:82], v[226:227], 2.0, -v[85:86]
	v_fma_f64 v[85:86], v[119:120], 2.0, -v[192:193]
	s_waitcnt lgkmcnt(3)
	v_mul_f64 v[119:120], v[11:12], v[7:8]
	v_mul_f64 v[7:8], v[9:10], v[7:8]
	v_fma_f64 v[103:104], v[103:104], 2.0, -v[111:112]
	v_fma_f64 v[111:112], v[117:118], 2.0, -v[121:122]
	;; [unrolled: 1-line block ×10, first 2 shown]
	v_lshlrev_b64 v[206:207], 4, v[210:211]
	ds_load_b128 v[45:48], v46 offset:1024
	s_waitcnt lgkmcnt(1)
	v_mul_f64 v[1:2], v[19:20], v[43:44]
	v_mul_f64 v[3:4], v[17:18], v[43:44]
	v_fma_f64 v[43:44], v[113:114], 2.0, -v[105:106]
	v_fma_f64 v[113:114], v[190:191], 2.0, -v[216:217]
	v_fma_f64 v[175:176], v[176:177], 2.0, -v[228:229]
	v_fma_f64 v[83:84], v[83:84], 2.0, -v[232:233]
	v_fma_f64 v[115:116], v[115:116], 2.0, -v[234:235]
	v_fma_f64 v[190:191], v[230:231], s[4:5], v[228:229]
	v_lshrrev_b32_e32 v177, 1, v240
	v_fma_f64 v[109:110], v[109:110], 2.0, -v[63:64]
	v_fma_f64 v[105:106], v[105:106], 2.0, -v[67:68]
	;; [unrolled: 1-line block ×3, first 2 shown]
	v_add_co_u32 v206, vcc_lo, s2, v206
	v_fma_f64 v[89:90], v[89:90], 2.0, -v[238:239]
	v_fma_f64 v[208:209], v[69:70], s[4:5], v[238:239]
	v_add_co_ci_u32_e32 v207, vcc_lo, s3, v207, vcc_lo
	v_add_co_u32 v171, vcc_lo, s2, v171
	v_add_co_ci_u32_e32 v172, vcc_lo, s3, v172, vcc_lo
	v_fma_f64 v[97:98], v[9:10], v[5:6], -v[119:120]
	v_fma_f64 v[119:120], v[11:12], v[5:6], v[7:8]
	v_fma_f64 v[8:9], v[234:235], s[4:5], v[232:233]
	;; [unrolled: 1-line block ×3, first 2 shown]
	v_add_f64 v[111:112], v[107:108], -v[111:112]
	v_add_f64 v[95:96], v[121:122], -v[95:96]
	;; [unrolled: 1-line block ×4, first 2 shown]
	v_lshrrev_b32_e32 v12, 6, v0
	v_add_f64 v[85:86], v[184:185], -v[85:86]
	v_add_f64 v[55:56], v[91:92], -v[55:56]
	v_and_b32_e32 v5, 31, v240
	v_and_b32_e32 v6, 0x1f0, v177
	;; [unrolled: 1-line block ×3, first 2 shown]
	v_add_co_u32 v169, vcc_lo, s2, v169
	s_delay_alu instid0(VALU_DEP_4) | instskip(NEXT) | instid1(VALU_DEP_4)
	v_lshl_add_u32 v5, v5, 4, 0
	v_add_nc_u32_e32 v6, s6, v6
	v_add_f64 v[103:104], v[43:44], -v[103:104]
	v_add_f64 v[113:114], v[182:183], -v[113:114]
	v_fma_f64 v[210:211], v[192:193], s[0:1], v[175:176]
	v_add_nc_u32_e32 v12, s6, v12
	v_fma_f64 v[216:217], v[115:116], s[0:1], v[83:84]
	v_fma_f64 v[69:70], v[69:70], s[0:1], v[190:191]
	v_fma_f64 v[218:219], v[17:18], v[41:42], -v[1:2]
	v_fma_f64 v[41:42], v[19:20], v[41:42], v[3:4]
	v_fma_f64 v[190:191], v[109:110], s[0:1], v[105:106]
	ds_load_b128 v[0:3], v5 offset:29952
	v_lshrrev_b32_e32 v17, 6, v240
	v_add_co_ci_u32_e32 v170, vcc_lo, s3, v170, vcc_lo
	v_fma_f64 v[226:227], v[204:205], s[0:1], v[89:90]
	v_fma_f64 v[208:209], v[230:231], s[4:5], v[208:209]
	s_delay_alu instid0(VALU_DEP_4) | instskip(SKIP_3) | instid1(VALU_DEP_4)
	v_and_b32_e32 v17, 0x1f0, v17
	v_mul_f64 v[230:231], v[65:66], v[35:36]
	v_add_co_u32 v167, vcc_lo, s2, v167
	v_add_co_ci_u32_e32 v168, vcc_lo, s3, v168, vcc_lo
	v_add_nc_u32_e32 v17, s6, v17
	v_fma_f64 v[63:64], v[63:64], s[0:1], v[8:9]
	v_fma_f64 v[234:235], v[234:235], s[4:5], v[10:11]
	ds_load_b128 v[8:11], v12 offset:1024
	ds_load_b128 v[4:7], v6 offset:512
	;; [unrolled: 1-line block ×3, first 2 shown]
	v_fma_f64 v[107:108], v[107:108], 2.0, -v[111:112]
	v_fma_f64 v[117:118], v[117:118], 2.0, -v[81:82]
	;; [unrolled: 1-line block ×6, first 2 shown]
	v_add_f64 v[85:86], v[81:82], -v[85:86]
	v_add_f64 v[202:203], v[55:56], -v[202:203]
	s_mov_b32 s6, 0xcf328d46
	s_mov_b32 s7, 0x3fed906b
	;; [unrolled: 1-line block ×3, first 2 shown]
	v_fma_f64 v[43:44], v[43:44], 2.0, -v[103:104]
	v_fma_f64 v[182:183], v[182:183], 2.0, -v[113:114]
	v_fma_f64 v[204:205], v[204:205], s[0:1], v[210:211]
	v_add_f64 v[111:112], v[103:104], v[111:112]
	v_fma_f64 v[109:110], v[109:110], s[0:1], v[216:217]
	v_add_f64 v[113:114], v[95:96], v[113:114]
	v_add_co_u32 v165, vcc_lo, s2, v165
	v_fma_f64 v[115:116], v[115:116], s[4:5], v[190:191]
	s_waitcnt lgkmcnt(2)
	v_mul_f64 v[190:191], v[10:11], v[222:223]
	v_mul_f64 v[10:11], v[10:11], v[214:215]
	s_waitcnt lgkmcnt(1)
	v_mul_f64 v[210:211], v[2:3], v[6:7]
	v_mul_f64 v[6:7], v[0:1], v[6:7]
	v_fma_f64 v[192:193], v[192:193], s[4:5], v[226:227]
	v_fma_f64 v[226:227], v[238:239], 2.0, -v[208:209]
	v_mul_f64 v[35:36], v[61:62], v[35:36]
	v_add_co_ci_u32_e32 v166, vcc_lo, s3, v166, vcc_lo
	v_fma_f64 v[216:217], v[232:233], 2.0, -v[63:64]
	v_fma_f64 v[67:68], v[67:68], 2.0, -v[234:235]
	v_add_f64 v[184:185], v[121:122], -v[184:185]
	v_add_f64 v[107:108], v[91:92], -v[107:108]
	v_fma_f64 v[81:82], v[81:82], 2.0, -v[85:86]
	v_fma_f64 v[55:56], v[55:56], 2.0, -v[202:203]
	v_add_f64 v[101:102], v[43:44], -v[101:102]
	v_add_f64 v[182:183], v[117:118], -v[182:183]
	v_fma_f64 v[103:104], v[103:104], 2.0, -v[111:112]
	v_fma_f64 v[83:84], v[83:84], 2.0, -v[109:110]
	;; [unrolled: 1-line block ×4, first 2 shown]
	v_fma_f64 v[190:191], v[8:9], v[214:215], -v[190:191]
	v_mul_f64 v[214:215], v[196:197], v[139:140]
	v_fma_f64 v[8:9], v[8:9], v[222:223], v[10:11]
	v_fma_f64 v[10:11], v[175:176], 2.0, -v[204:205]
	v_mul_f64 v[139:140], v[194:195], v[139:140]
	v_fma_f64 v[89:90], v[89:90], 2.0, -v[192:193]
	v_fma_f64 v[0:1], v[0:1], v[4:5], -v[210:211]
	v_fma_f64 v[2:3], v[2:3], v[4:5], v[6:7]
	v_mul_f64 v[4:5], v[180:181], v[131:132]
	v_mul_f64 v[6:7], v[178:179], v[131:132]
	;; [unrolled: 1-line block ×4, first 2 shown]
	v_fma_f64 v[210:211], v[228:229], 2.0, -v[69:70]
	v_mul_f64 v[175:176], v[200:201], v[135:136]
	v_mul_f64 v[135:136], v[198:199], v[135:136]
	v_fma_f64 v[121:122], v[121:122], 2.0, -v[184:185]
	v_fma_f64 v[91:92], v[91:92], 2.0, -v[107:108]
	v_add_f64 v[107:108], v[184:185], v[107:108]
	v_fma_f64 v[43:44], v[43:44], 2.0, -v[101:102]
	v_fma_f64 v[117:118], v[117:118], 2.0, -v[182:183]
	v_add_f64 v[101:102], v[182:183], -v[101:102]
	v_fma_f64 v[222:223], v[103:104], s[0:1], v[95:96]
	v_fma_f64 v[194:195], v[137:138], v[194:195], -v[214:215]
	v_fma_f64 v[214:215], v[55:56], s[0:1], v[81:82]
	v_fma_f64 v[228:229], v[83:84], s[12:13], v[10:11]
	;; [unrolled: 1-line block ×4, first 2 shown]
	v_mul_f64 v[196:197], v[123:124], v[143:144]
	v_mul_f64 v[143:144], v[87:88], v[143:144]
	v_fma_f64 v[4:5], v[129:130], v[178:179], -v[4:5]
	v_fma_f64 v[6:7], v[129:130], v[180:181], v[6:7]
	v_fma_f64 v[129:130], v[234:235], s[6:7], v[208:209]
	v_fma_f64 v[131:132], v[125:126], v[186:187], -v[131:132]
	v_fma_f64 v[125:126], v[125:126], v[188:189], v[127:128]
	v_fma_f64 v[127:128], v[109:110], s[8:9], v[204:205]
	;; [unrolled: 1-line block ×4, first 2 shown]
	v_fma_f64 v[175:176], v[133:134], v[198:199], -v[175:176]
	v_fma_f64 v[198:199], v[115:116], s[8:9], v[192:193]
	v_fma_f64 v[179:180], v[111:112], s[4:5], v[113:114]
	;; [unrolled: 1-line block ×5, first 2 shown]
	v_mul_f64 v[200:201], v[49:50], v[27:28]
	v_mul_f64 v[27:28], v[99:100], v[27:28]
	v_add_f64 v[43:44], v[121:122], -v[43:44]
	v_add_f64 v[91:92], v[117:118], -v[91:92]
	v_fma_f64 v[222:223], v[55:56], s[4:5], v[222:223]
	v_mul_f64 v[55:56], v[218:219], v[47:48]
	v_fma_f64 v[103:104], v[103:104], s[0:1], v[214:215]
	v_fma_f64 v[105:106], v[105:106], s[10:11], v[228:229]
	s_waitcnt lgkmcnt(0)
	v_mul_f64 v[228:229], v[0:1], v[19:20]
	v_fma_f64 v[83:84], v[83:84], s[8:9], v[139:140]
	v_mul_f64 v[139:140], v[57:58], v[23:24]
	v_mul_f64 v[23:24], v[93:94], v[23:24]
	;; [unrolled: 1-line block ×3, first 2 shown]
	v_fma_f64 v[87:88], v[141:142], v[87:88], -v[196:197]
	v_fma_f64 v[63:64], v[63:64], s[8:9], v[129:130]
	v_mul_f64 v[129:130], v[173:174], v[31:32]
	v_mul_f64 v[31:32], v[224:225], v[31:32]
	v_fma_f64 v[115:116], v[115:116], s[12:13], v[127:128]
	v_mul_f64 v[127:128], v[53:54], v[73:74]
	v_fma_f64 v[67:68], v[67:68], s[12:13], v[186:187]
	;; [unrolled: 2-line block ×4, first 2 shown]
	v_fma_f64 v[179:180], v[202:203], s[4:5], v[179:180]
	v_mul_f64 v[202:203], v[236:237], v[39:40]
	v_fma_f64 v[111:112], v[111:112], s[0:1], v[135:136]
	v_fma_f64 v[177:178], v[234:235], s[10:11], v[177:178]
	v_mul_f64 v[39:40], v[51:52], v[39:40]
	v_mul_f64 v[73:74], v[59:60], v[73:74]
	;; [unrolled: 1-line block ×4, first 2 shown]
	v_fma_f64 v[99:100], v[25:26], v[99:100], -v[200:201]
	v_fma_f64 v[25:26], v[25:26], v[49:50], v[27:28]
	v_mul_f64 v[27:28], v[41:42], v[47:48]
	v_fma_f64 v[47:48], v[33:34], v[61:62], v[230:231]
	v_fma_f64 v[121:122], v[121:122], 2.0, -v[43:44]
	v_fma_f64 v[117:118], v[117:118], 2.0, -v[91:92]
	v_fma_f64 v[123:124], v[141:142], v[123:124], v[143:144]
	v_fma_f64 v[41:42], v[45:46], v[41:42], v[55:56]
	v_fma_f64 v[95:96], v[95:96], 2.0, -v[222:223]
	v_add_co_u32 v135, vcc_lo, s2, v163
	v_fma_f64 v[55:56], v[184:185], 2.0, -v[107:108]
	v_fma_f64 v[81:82], v[81:82], 2.0, -v[103:104]
	;; [unrolled: 1-line block ×3, first 2 shown]
	v_fma_f64 v[2:3], v[17:18], v[2:3], v[228:229]
	v_fma_f64 v[89:90], v[89:90], 2.0, -v[83:84]
	v_add_co_ci_u32_e32 v136, vcc_lo, s3, v164, vcc_lo
	v_fma_f64 v[10:11], v[21:22], v[57:58], v[23:24]
	v_fma_f64 v[93:94], v[21:22], v[93:94], -v[139:140]
	v_fma_f64 v[33:34], v[33:34], v[65:66], -v[35:36]
	v_fma_f64 v[49:50], v[29:30], v[224:225], v[129:130]
	v_fma_f64 v[57:58], v[29:30], v[173:174], -v[31:32]
	v_mul_f64 v[22:23], v[101:102], v[133:134]
	v_fma_f64 v[59:60], v[71:72], v[59:60], v[127:128]
	v_fma_f64 v[127:128], v[182:183], 2.0, -v[101:102]
	v_fma_f64 v[61:62], v[75:76], v[79:80], v[186:187]
	v_fma_f64 v[129:130], v[226:227], 2.0, -v[188:189]
	;; [unrolled: 2-line block ×3, first 2 shown]
	v_fma_f64 v[119:120], v[208:209], 2.0, -v[63:64]
	v_fma_f64 v[163:164], v[192:193], 2.0, -v[109:110]
	;; [unrolled: 1-line block ×3, first 2 shown]
	v_fma_f64 v[51:52], v[37:38], v[51:52], v[202:203]
	v_fma_f64 v[113:114], v[113:114], 2.0, -v[179:180]
	v_fma_f64 v[85:86], v[85:86], 2.0, -v[111:112]
	;; [unrolled: 1-line block ×3, first 2 shown]
	v_fma_f64 v[65:66], v[37:38], v[236:237], -v[39:40]
	v_fma_f64 v[71:72], v[71:72], v[53:54], -v[73:74]
	;; [unrolled: 1-line block ×6, first 2 shown]
	v_mul_f64 v[20:21], v[107:108], v[133:134]
	v_mul_f64 v[73:74], v[109:110], v[137:138]
	v_mul_f64 v[75:76], v[115:116], v[137:138]
	v_mul_f64 v[45:46], v[43:44], v[47:48]
	v_mul_f64 v[47:48], v[91:92], v[47:48]
	v_mul_f64 v[137:138], v[121:122], v[8:9]
	v_mul_f64 v[139:140], v[117:118], v[8:9]
	v_mul_f64 v[133:134], v[95:96], v[41:42]
	v_mul_f64 v[40:41], v[81:82], v[41:42]
	v_mul_f64 v[183:184], v[2:3], v[141:142]
	v_mul_f64 v[173:174], v[2:3], v[89:90]
	v_mul_f64 v[0:1], v[63:64], v[6:7]
	v_mul_f64 v[6:7], v[177:178], v[6:7]
	v_mul_f64 v[14:15], v[179:180], v[125:126]
	v_mul_f64 v[18:19], v[111:112], v[125:126]
	v_mul_f64 v[38:39], v[222:223], v[25:26]
	v_mul_f64 v[30:31], v[188:189], v[123:124]
	v_mul_f64 v[198:199], v[83:84], v[10:11]
	v_mul_f64 v[200:201], v[105:106], v[10:11]
	v_mul_f64 v[202:203], v[103:104], v[25:26]
	v_mul_f64 v[123:124], v[67:68], v[123:124]
	v_mul_f64 v[97:98], v[55:56], v[61:62]
	v_mul_f64 v[61:62], v[127:128], v[61:62]
	v_mul_f64 v[125:126], v[129:130], v[79:80]
	v_mul_f64 v[79:80], v[143:144], v[79:80]
	v_mul_f64 v[53:54], v[119:120], v[49:50]
	v_mul_f64 v[185:186], v[163:164], v[59:60]
	v_mul_f64 v[59:60], v[181:182], v[59:60]
	v_fma_f64 v[8:9], v[107:108], v[175:176], v[22:23]
	v_mul_f64 v[77:78], v[113:114], v[51:52]
	v_mul_f64 v[192:193], v[85:86], v[51:52]
	;; [unrolled: 1-line block ×3, first 2 shown]
	v_add_co_u32 v161, vcc_lo, s2, v161
	v_add_co_ci_u32_e32 v162, vcc_lo, s3, v162, vcc_lo
	v_add_co_u32 v159, vcc_lo, s2, v159
	v_fma_f64 v[10:11], v[101:102], v[175:176], -v[20:21]
	v_add_co_ci_u32_e32 v160, vcc_lo, s3, v160, vcc_lo
	v_fma_f64 v[22:23], v[91:92], v[33:34], -v[45:46]
	v_fma_f64 v[20:21], v[43:44], v[33:34], v[47:48]
	v_fma_f64 v[46:47], v[117:118], v[190:191], -v[137:138]
	v_fma_f64 v[44:45], v[121:122], v[190:191], v[139:140]
	;; [unrolled: 2-line block ×3, first 2 shown]
	v_fma_f64 v[48:49], v[16:17], v[89:90], v[183:184]
	v_fma_f64 v[50:51], v[16:17], v[141:142], -v[173:174]
	v_fma_f64 v[2:3], v[177:178], v[4:5], -v[0:1]
	v_fma_f64 v[0:1], v[63:64], v[4:5], v[6:7]
	v_fma_f64 v[6:7], v[111:112], v[131:132], -v[14:15]
	v_fma_f64 v[4:5], v[179:180], v[131:132], v[18:19]
	v_fma_f64 v[18:19], v[103:104], v[99:100], -v[38:39]
	v_fma_f64 v[14:15], v[67:68], v[87:88], -v[30:31]
	v_add_co_u32 v64, vcc_lo, s2, v157
	v_fma_f64 v[16:17], v[222:223], v[99:100], v[202:203]
	v_fma_f64 v[34:35], v[127:128], v[36:37], -v[97:98]
	v_fma_f64 v[32:33], v[55:56], v[36:37], v[61:62]
	v_fma_f64 v[38:39], v[143:144], v[12:13], -v[125:126]
	;; [unrolled: 2-line block ×3, first 2 shown]
	v_fma_f64 v[54:55], v[181:182], v[71:72], -v[185:186]
	v_fma_f64 v[52:53], v[163:164], v[71:72], v[59:60]
	v_fma_f64 v[12:13], v[188:189], v[87:88], v[123:124]
	v_fma_f64 v[30:31], v[85:86], v[65:66], -v[77:78]
	v_fma_f64 v[28:29], v[113:114], v[65:66], v[192:193]
	v_fma_f64 v[24:25], v[119:120], v[57:58], v[196:197]
	v_fma_f64 v[58:59], v[105:106], v[93:94], -v[198:199]
	v_fma_f64 v[56:57], v[83:84], v[93:94], v[200:201]
	v_fma_f64 v[62:63], v[115:116], v[194:195], -v[73:74]
	v_fma_f64 v[60:61], v[109:110], v[194:195], v[75:76]
	v_add_co_ci_u32_e32 v65, vcc_lo, s3, v158, vcc_lo
	v_add_co_u32 v66, vcc_lo, s2, v155
	v_add_co_ci_u32_e32 v67, vcc_lo, s3, v156, vcc_lo
	v_add_co_u32 v68, vcc_lo, s2, v153
	;; [unrolled: 2-line block ×5, first 2 shown]
	v_add_co_ci_u32_e32 v75, vcc_lo, s3, v148, vcc_lo
	s_clause 0xf
	global_store_b128 v[145:146], v[44:47], off
	global_store_b128 v[212:213], v[48:51], off
	global_store_b128 v[206:207], v[40:43], off
	global_store_b128 v[171:172], v[36:39], off
	global_store_b128 v[169:170], v[32:35], off
	global_store_b128 v[167:168], v[52:55], off
	global_store_b128 v[165:166], v[28:31], off
	global_store_b128 v[135:136], v[24:27], off
	global_store_b128 v[161:162], v[20:23], off
	global_store_b128 v[159:160], v[56:59], off
	global_store_b128 v[64:65], v[16:19], off
	global_store_b128 v[66:67], v[12:15], off
	global_store_b128 v[68:69], v[8:11], off
	global_store_b128 v[70:71], v[60:63], off
	global_store_b128 v[72:73], v[4:7], off
	global_store_b128 v[74:75], v[0:3], off
.LBB0_44:
	s_nop 0
	s_sendmsg sendmsg(MSG_DEALLOC_VGPRS)
	s_endpgm
	.section	.rodata,"a",@progbits
	.p2align	6, 0x0
	.amdhsa_kernel fft_rtc_back_len208_factors_13_16_wgs_144_tpt_16_dp_ip_CI_sbcc_twdbase5_3step_dirReg_intrinsicReadWrite
		.amdhsa_group_segment_fixed_size 0
		.amdhsa_private_segment_fixed_size 0
		.amdhsa_kernarg_size 96
		.amdhsa_user_sgpr_count 15
		.amdhsa_user_sgpr_dispatch_ptr 0
		.amdhsa_user_sgpr_queue_ptr 0
		.amdhsa_user_sgpr_kernarg_segment_ptr 1
		.amdhsa_user_sgpr_dispatch_id 0
		.amdhsa_user_sgpr_private_segment_size 0
		.amdhsa_wavefront_size32 1
		.amdhsa_uses_dynamic_stack 0
		.amdhsa_enable_private_segment 0
		.amdhsa_system_sgpr_workgroup_id_x 1
		.amdhsa_system_sgpr_workgroup_id_y 0
		.amdhsa_system_sgpr_workgroup_id_z 0
		.amdhsa_system_sgpr_workgroup_info 0
		.amdhsa_system_vgpr_workitem_id 0
		.amdhsa_next_free_vgpr 241
		.amdhsa_next_free_sgpr 43
		.amdhsa_reserve_vcc 1
		.amdhsa_float_round_mode_32 0
		.amdhsa_float_round_mode_16_64 0
		.amdhsa_float_denorm_mode_32 3
		.amdhsa_float_denorm_mode_16_64 3
		.amdhsa_dx10_clamp 1
		.amdhsa_ieee_mode 1
		.amdhsa_fp16_overflow 0
		.amdhsa_workgroup_processor_mode 1
		.amdhsa_memory_ordered 1
		.amdhsa_forward_progress 0
		.amdhsa_shared_vgpr_count 0
		.amdhsa_exception_fp_ieee_invalid_op 0
		.amdhsa_exception_fp_denorm_src 0
		.amdhsa_exception_fp_ieee_div_zero 0
		.amdhsa_exception_fp_ieee_overflow 0
		.amdhsa_exception_fp_ieee_underflow 0
		.amdhsa_exception_fp_ieee_inexact 0
		.amdhsa_exception_int_div_zero 0
	.end_amdhsa_kernel
	.text
.Lfunc_end0:
	.size	fft_rtc_back_len208_factors_13_16_wgs_144_tpt_16_dp_ip_CI_sbcc_twdbase5_3step_dirReg_intrinsicReadWrite, .Lfunc_end0-fft_rtc_back_len208_factors_13_16_wgs_144_tpt_16_dp_ip_CI_sbcc_twdbase5_3step_dirReg_intrinsicReadWrite
                                        ; -- End function
	.section	.AMDGPU.csdata,"",@progbits
; Kernel info:
; codeLenInByte = 12588
; NumSgprs: 45
; NumVgprs: 241
; ScratchSize: 0
; MemoryBound: 0
; FloatMode: 240
; IeeeMode: 1
; LDSByteSize: 0 bytes/workgroup (compile time only)
; SGPRBlocks: 5
; VGPRBlocks: 30
; NumSGPRsForWavesPerEU: 45
; NumVGPRsForWavesPerEU: 241
; Occupancy: 5
; WaveLimiterHint : 1
; COMPUTE_PGM_RSRC2:SCRATCH_EN: 0
; COMPUTE_PGM_RSRC2:USER_SGPR: 15
; COMPUTE_PGM_RSRC2:TRAP_HANDLER: 0
; COMPUTE_PGM_RSRC2:TGID_X_EN: 1
; COMPUTE_PGM_RSRC2:TGID_Y_EN: 0
; COMPUTE_PGM_RSRC2:TGID_Z_EN: 0
; COMPUTE_PGM_RSRC2:TIDIG_COMP_CNT: 0
	.text
	.p2alignl 7, 3214868480
	.fill 96, 4, 3214868480
	.type	__hip_cuid_8c13bb056de3aeb5,@object ; @__hip_cuid_8c13bb056de3aeb5
	.section	.bss,"aw",@nobits
	.globl	__hip_cuid_8c13bb056de3aeb5
__hip_cuid_8c13bb056de3aeb5:
	.byte	0                               ; 0x0
	.size	__hip_cuid_8c13bb056de3aeb5, 1

	.ident	"AMD clang version 19.0.0git (https://github.com/RadeonOpenCompute/llvm-project roc-6.4.0 25133 c7fe45cf4b819c5991fe208aaa96edf142730f1d)"
	.section	".note.GNU-stack","",@progbits
	.addrsig
	.addrsig_sym __hip_cuid_8c13bb056de3aeb5
	.amdgpu_metadata
---
amdhsa.kernels:
  - .args:
      - .actual_access:  read_only
        .address_space:  global
        .offset:         0
        .size:           8
        .value_kind:     global_buffer
      - .address_space:  global
        .offset:         8
        .size:           8
        .value_kind:     global_buffer
      - .offset:         16
        .size:           8
        .value_kind:     by_value
      - .actual_access:  read_only
        .address_space:  global
        .offset:         24
        .size:           8
        .value_kind:     global_buffer
      - .actual_access:  read_only
        .address_space:  global
        .offset:         32
        .size:           8
        .value_kind:     global_buffer
      - .offset:         40
        .size:           8
        .value_kind:     by_value
      - .actual_access:  read_only
        .address_space:  global
        .offset:         48
        .size:           8
        .value_kind:     global_buffer
      - .actual_access:  read_only
        .address_space:  global
        .offset:         56
        .size:           8
        .value_kind:     global_buffer
      - .offset:         64
        .size:           4
        .value_kind:     by_value
      - .actual_access:  read_only
        .address_space:  global
        .offset:         72
        .size:           8
        .value_kind:     global_buffer
      - .actual_access:  read_only
        .address_space:  global
        .offset:         80
        .size:           8
        .value_kind:     global_buffer
      - .address_space:  global
        .offset:         88
        .size:           8
        .value_kind:     global_buffer
    .group_segment_fixed_size: 0
    .kernarg_segment_align: 8
    .kernarg_segment_size: 96
    .language:       OpenCL C
    .language_version:
      - 2
      - 0
    .max_flat_workgroup_size: 144
    .name:           fft_rtc_back_len208_factors_13_16_wgs_144_tpt_16_dp_ip_CI_sbcc_twdbase5_3step_dirReg_intrinsicReadWrite
    .private_segment_fixed_size: 0
    .sgpr_count:     45
    .sgpr_spill_count: 0
    .symbol:         fft_rtc_back_len208_factors_13_16_wgs_144_tpt_16_dp_ip_CI_sbcc_twdbase5_3step_dirReg_intrinsicReadWrite.kd
    .uniform_work_group_size: 1
    .uses_dynamic_stack: false
    .vgpr_count:     241
    .vgpr_spill_count: 0
    .wavefront_size: 32
    .workgroup_processor_mode: 1
amdhsa.target:   amdgcn-amd-amdhsa--gfx1100
amdhsa.version:
  - 1
  - 2
...

	.end_amdgpu_metadata
